;; amdgpu-corpus repo=ROCm/rocFFT kind=compiled arch=gfx906 opt=O3
	.text
	.amdgcn_target "amdgcn-amd-amdhsa--gfx906"
	.amdhsa_code_object_version 6
	.protected	fft_rtc_back_len714_factors_3_17_7_2_wgs_51_tpt_51_halfLds_sp_op_CI_CI_sbrr_dirReg ; -- Begin function fft_rtc_back_len714_factors_3_17_7_2_wgs_51_tpt_51_halfLds_sp_op_CI_CI_sbrr_dirReg
	.globl	fft_rtc_back_len714_factors_3_17_7_2_wgs_51_tpt_51_halfLds_sp_op_CI_CI_sbrr_dirReg
	.p2align	8
	.type	fft_rtc_back_len714_factors_3_17_7_2_wgs_51_tpt_51_halfLds_sp_op_CI_CI_sbrr_dirReg,@function
fft_rtc_back_len714_factors_3_17_7_2_wgs_51_tpt_51_halfLds_sp_op_CI_CI_sbrr_dirReg: ; @fft_rtc_back_len714_factors_3_17_7_2_wgs_51_tpt_51_halfLds_sp_op_CI_CI_sbrr_dirReg
; %bb.0:
	s_load_dwordx4 s[16:19], s[4:5], 0x18
	s_load_dwordx4 s[12:15], s[4:5], 0x0
	;; [unrolled: 1-line block ×3, first 2 shown]
	v_mul_u32_u24_e32 v1, 0x506, v0
	v_mov_b32_e32 v3, 0
	s_waitcnt lgkmcnt(0)
	s_load_dwordx2 s[2:3], s[16:17], 0x0
	s_load_dwordx2 s[20:21], s[18:19], 0x0
	v_cmp_lt_u64_e64 s[0:1], s[14:15], 2
	v_mov_b32_e32 v10, 0
	v_add_u32_sdwa v7, s6, v1 dst_sel:DWORD dst_unused:UNUSED_PAD src0_sel:DWORD src1_sel:WORD_1
	v_mov_b32_e32 v8, v3
	s_and_b64 vcc, exec, s[0:1]
	v_mov_b32_e32 v11, 0
	s_cbranch_vccnz .LBB0_8
; %bb.1:
	s_load_dwordx2 s[0:1], s[4:5], 0x10
	s_add_u32 s6, s18, 8
	s_addc_u32 s7, s19, 0
	s_add_u32 s22, s16, 8
	s_addc_u32 s23, s17, 0
	v_mov_b32_e32 v10, 0
	s_waitcnt lgkmcnt(0)
	s_add_u32 s24, s0, 8
	v_mov_b32_e32 v11, 0
	v_mov_b32_e32 v1, v10
	s_addc_u32 s25, s1, 0
	s_mov_b64 s[26:27], 1
	v_mov_b32_e32 v2, v11
.LBB0_2:                                ; =>This Inner Loop Header: Depth=1
	s_load_dwordx2 s[28:29], s[24:25], 0x0
                                        ; implicit-def: $vgpr5_vgpr6
	s_waitcnt lgkmcnt(0)
	v_or_b32_e32 v4, s29, v8
	v_cmp_ne_u64_e32 vcc, 0, v[3:4]
	s_and_saveexec_b64 s[0:1], vcc
	s_xor_b64 s[30:31], exec, s[0:1]
	s_cbranch_execz .LBB0_4
; %bb.3:                                ;   in Loop: Header=BB0_2 Depth=1
	v_cvt_f32_u32_e32 v4, s28
	v_cvt_f32_u32_e32 v5, s29
	s_sub_u32 s0, 0, s28
	s_subb_u32 s1, 0, s29
	v_mac_f32_e32 v4, 0x4f800000, v5
	v_rcp_f32_e32 v4, v4
	v_mul_f32_e32 v4, 0x5f7ffffc, v4
	v_mul_f32_e32 v5, 0x2f800000, v4
	v_trunc_f32_e32 v5, v5
	v_mac_f32_e32 v4, 0xcf800000, v5
	v_cvt_u32_f32_e32 v5, v5
	v_cvt_u32_f32_e32 v4, v4
	v_mul_lo_u32 v6, s0, v5
	v_mul_hi_u32 v9, s0, v4
	v_mul_lo_u32 v13, s1, v4
	v_mul_lo_u32 v12, s0, v4
	v_add_u32_e32 v6, v9, v6
	v_add_u32_e32 v6, v6, v13
	v_mul_hi_u32 v9, v4, v12
	v_mul_lo_u32 v13, v4, v6
	v_mul_hi_u32 v15, v4, v6
	v_mul_hi_u32 v14, v5, v12
	v_mul_lo_u32 v12, v5, v12
	v_mul_hi_u32 v16, v5, v6
	v_add_co_u32_e32 v9, vcc, v9, v13
	v_addc_co_u32_e32 v13, vcc, 0, v15, vcc
	v_mul_lo_u32 v6, v5, v6
	v_add_co_u32_e32 v9, vcc, v9, v12
	v_addc_co_u32_e32 v9, vcc, v13, v14, vcc
	v_addc_co_u32_e32 v12, vcc, 0, v16, vcc
	v_add_co_u32_e32 v6, vcc, v9, v6
	v_addc_co_u32_e32 v9, vcc, 0, v12, vcc
	v_add_co_u32_e32 v4, vcc, v4, v6
	v_addc_co_u32_e32 v5, vcc, v5, v9, vcc
	v_mul_lo_u32 v6, s0, v5
	v_mul_hi_u32 v9, s0, v4
	v_mul_lo_u32 v12, s1, v4
	v_mul_lo_u32 v13, s0, v4
	v_add_u32_e32 v6, v9, v6
	v_add_u32_e32 v6, v6, v12
	v_mul_lo_u32 v14, v4, v6
	v_mul_hi_u32 v15, v4, v13
	v_mul_hi_u32 v16, v4, v6
	;; [unrolled: 1-line block ×3, first 2 shown]
	v_mul_lo_u32 v13, v5, v13
	v_mul_hi_u32 v9, v5, v6
	v_add_co_u32_e32 v14, vcc, v15, v14
	v_addc_co_u32_e32 v15, vcc, 0, v16, vcc
	v_mul_lo_u32 v6, v5, v6
	v_add_co_u32_e32 v13, vcc, v14, v13
	v_addc_co_u32_e32 v12, vcc, v15, v12, vcc
	v_addc_co_u32_e32 v9, vcc, 0, v9, vcc
	v_add_co_u32_e32 v6, vcc, v12, v6
	v_addc_co_u32_e32 v9, vcc, 0, v9, vcc
	v_add_co_u32_e32 v6, vcc, v4, v6
	v_addc_co_u32_e32 v9, vcc, v5, v9, vcc
	v_mad_u64_u32 v[4:5], s[0:1], v7, v9, 0
	v_mul_hi_u32 v12, v7, v6
	v_add_co_u32_e32 v14, vcc, v12, v4
	v_addc_co_u32_e32 v15, vcc, 0, v5, vcc
	v_mad_u64_u32 v[4:5], s[0:1], v8, v6, 0
	v_mad_u64_u32 v[12:13], s[0:1], v8, v9, 0
	v_add_co_u32_e32 v4, vcc, v14, v4
	v_addc_co_u32_e32 v4, vcc, v15, v5, vcc
	v_addc_co_u32_e32 v5, vcc, 0, v13, vcc
	v_add_co_u32_e32 v9, vcc, v4, v12
	v_addc_co_u32_e32 v6, vcc, 0, v5, vcc
	v_mul_lo_u32 v12, s29, v9
	v_mul_lo_u32 v13, s28, v6
	v_mad_u64_u32 v[4:5], s[0:1], s28, v9, 0
	v_add3_u32 v5, v5, v13, v12
	v_sub_u32_e32 v12, v8, v5
	v_mov_b32_e32 v13, s29
	v_sub_co_u32_e32 v4, vcc, v7, v4
	v_subb_co_u32_e64 v12, s[0:1], v12, v13, vcc
	v_subrev_co_u32_e64 v13, s[0:1], s28, v4
	v_subbrev_co_u32_e64 v12, s[0:1], 0, v12, s[0:1]
	v_cmp_le_u32_e64 s[0:1], s29, v12
	v_cndmask_b32_e64 v14, 0, -1, s[0:1]
	v_cmp_le_u32_e64 s[0:1], s28, v13
	v_cndmask_b32_e64 v13, 0, -1, s[0:1]
	v_cmp_eq_u32_e64 s[0:1], s29, v12
	v_cndmask_b32_e64 v12, v14, v13, s[0:1]
	v_add_co_u32_e64 v13, s[0:1], 2, v9
	v_addc_co_u32_e64 v14, s[0:1], 0, v6, s[0:1]
	v_add_co_u32_e64 v15, s[0:1], 1, v9
	v_addc_co_u32_e64 v16, s[0:1], 0, v6, s[0:1]
	v_subb_co_u32_e32 v5, vcc, v8, v5, vcc
	v_cmp_ne_u32_e64 s[0:1], 0, v12
	v_cmp_le_u32_e32 vcc, s29, v5
	v_cndmask_b32_e64 v12, v16, v14, s[0:1]
	v_cndmask_b32_e64 v14, 0, -1, vcc
	v_cmp_le_u32_e32 vcc, s28, v4
	v_cndmask_b32_e64 v4, 0, -1, vcc
	v_cmp_eq_u32_e32 vcc, s29, v5
	v_cndmask_b32_e32 v4, v14, v4, vcc
	v_cmp_ne_u32_e32 vcc, 0, v4
	v_cndmask_b32_e64 v4, v15, v13, s[0:1]
	v_cndmask_b32_e32 v6, v6, v12, vcc
	v_cndmask_b32_e32 v5, v9, v4, vcc
.LBB0_4:                                ;   in Loop: Header=BB0_2 Depth=1
	s_andn2_saveexec_b64 s[0:1], s[30:31]
	s_cbranch_execz .LBB0_6
; %bb.5:                                ;   in Loop: Header=BB0_2 Depth=1
	v_cvt_f32_u32_e32 v4, s28
	s_sub_i32 s30, 0, s28
	v_rcp_iflag_f32_e32 v4, v4
	v_mul_f32_e32 v4, 0x4f7ffffe, v4
	v_cvt_u32_f32_e32 v4, v4
	v_mul_lo_u32 v5, s30, v4
	v_mul_hi_u32 v5, v4, v5
	v_add_u32_e32 v4, v4, v5
	v_mul_hi_u32 v4, v7, v4
	v_mul_lo_u32 v5, v4, s28
	v_add_u32_e32 v6, 1, v4
	v_sub_u32_e32 v5, v7, v5
	v_subrev_u32_e32 v9, s28, v5
	v_cmp_le_u32_e32 vcc, s28, v5
	v_cndmask_b32_e32 v5, v5, v9, vcc
	v_cndmask_b32_e32 v4, v4, v6, vcc
	v_add_u32_e32 v6, 1, v4
	v_cmp_le_u32_e32 vcc, s28, v5
	v_cndmask_b32_e32 v5, v4, v6, vcc
	v_mov_b32_e32 v6, v3
.LBB0_6:                                ;   in Loop: Header=BB0_2 Depth=1
	s_or_b64 exec, exec, s[0:1]
	v_mul_lo_u32 v4, v6, s28
	v_mul_lo_u32 v9, v5, s29
	v_mad_u64_u32 v[12:13], s[0:1], v5, s28, 0
	s_load_dwordx2 s[0:1], s[22:23], 0x0
	s_load_dwordx2 s[28:29], s[6:7], 0x0
	v_add3_u32 v4, v13, v9, v4
	v_sub_co_u32_e32 v7, vcc, v7, v12
	v_subb_co_u32_e32 v4, vcc, v8, v4, vcc
	s_waitcnt lgkmcnt(0)
	v_mul_lo_u32 v8, s0, v4
	v_mul_lo_u32 v9, s1, v7
	v_mad_u64_u32 v[10:11], s[0:1], s0, v7, v[10:11]
	s_add_u32 s26, s26, 1
	s_addc_u32 s27, s27, 0
	s_add_u32 s6, s6, 8
	v_mul_lo_u32 v4, s28, v4
	v_mul_lo_u32 v12, s29, v7
	v_mad_u64_u32 v[1:2], s[0:1], s28, v7, v[1:2]
	v_add3_u32 v11, v9, v11, v8
	s_addc_u32 s7, s7, 0
	v_mov_b32_e32 v7, s14
	s_add_u32 s22, s22, 8
	v_mov_b32_e32 v8, s15
	s_addc_u32 s23, s23, 0
	v_cmp_ge_u64_e32 vcc, s[26:27], v[7:8]
	s_add_u32 s24, s24, 8
	v_add3_u32 v2, v12, v2, v4
	s_addc_u32 s25, s25, 0
	s_cbranch_vccnz .LBB0_9
; %bb.7:                                ;   in Loop: Header=BB0_2 Depth=1
	v_mov_b32_e32 v8, v6
	v_mov_b32_e32 v7, v5
	s_branch .LBB0_2
.LBB0_8:
	v_mov_b32_e32 v1, v10
	v_mov_b32_e32 v5, v7
	;; [unrolled: 1-line block ×4, first 2 shown]
.LBB0_9:
	s_load_dwordx2 s[0:1], s[4:5], 0x28
	s_lshl_b64 s[14:15], s[14:15], 3
	s_add_u32 s4, s18, s14
	s_addc_u32 s5, s19, s15
                                        ; implicit-def: $vgpr3
                                        ; implicit-def: $vgpr7
                                        ; implicit-def: $vgpr8
                                        ; implicit-def: $vgpr9
	s_waitcnt lgkmcnt(0)
	v_cmp_gt_u64_e32 vcc, s[0:1], v[5:6]
	v_cmp_le_u64_e64 s[0:1], s[0:1], v[5:6]
	s_and_saveexec_b64 s[6:7], s[0:1]
	s_xor_b64 s[0:1], exec, s[6:7]
; %bb.10:
	s_mov_b32 s6, 0x5050506
	v_mul_hi_u32 v3, v0, s6
                                        ; implicit-def: $vgpr10_vgpr11
	v_mul_u32_u24_e32 v3, 51, v3
	v_sub_u32_e32 v3, v0, v3
	v_add_u32_e32 v7, 51, v3
	v_add_u32_e32 v8, 0x66, v3
	;; [unrolled: 1-line block ×3, first 2 shown]
                                        ; implicit-def: $vgpr0
; %bb.11:
	s_or_saveexec_b64 s[6:7], s[0:1]
	s_load_dwordx2 s[4:5], s[4:5], 0x0
                                        ; implicit-def: $vgpr15
                                        ; implicit-def: $vgpr47
                                        ; implicit-def: $vgpr49
                                        ; implicit-def: $vgpr21
                                        ; implicit-def: $vgpr43
                                        ; implicit-def: $vgpr45
                                        ; implicit-def: $vgpr19
                                        ; implicit-def: $vgpr37
                                        ; implicit-def: $vgpr41
                                        ; implicit-def: $vgpr17
                                        ; implicit-def: $vgpr35
                                        ; implicit-def: $vgpr39
                                        ; implicit-def: $vgpr23
                                        ; implicit-def: $vgpr57
                                        ; implicit-def: $vgpr55
	s_xor_b64 exec, exec, s[6:7]
	s_cbranch_execz .LBB0_15
; %bb.12:
	s_add_u32 s0, s16, s14
	s_addc_u32 s1, s17, s15
	s_mov_b32 s14, 0x5050506
	v_mul_hi_u32 v3, v0, s14
	s_load_dwordx2 s[0:1], s[0:1], 0x0
	v_mul_u32_u24_e32 v3, 51, v3
	v_sub_u32_e32 v3, v0, v3
	s_waitcnt lgkmcnt(0)
	v_mul_lo_u32 v4, s1, v5
	v_mul_lo_u32 v14, s0, v6
	v_mad_u64_u32 v[12:13], s[0:1], s0, v5, 0
	v_mad_u64_u32 v[7:8], s[14:15], s2, v3, 0
	v_add3_u32 v13, v13, v14, v4
	v_lshlrev_b64 v[12:13], 3, v[12:13]
	v_mov_b32_e32 v0, v8
	v_mad_u64_u32 v[8:9], s[0:1], s3, v3, v[0:1]
	v_mov_b32_e32 v0, s9
	v_add_co_u32_e64 v4, s[0:1], s8, v12
	v_add_u32_e32 v14, 0xee, v3
	v_addc_co_u32_e64 v13, s[0:1], v0, v13, s[0:1]
	v_lshlrev_b64 v[9:10], 3, v[10:11]
	v_mad_u64_u32 v[11:12], s[0:1], s2, v14, 0
	v_add_co_u32_e64 v0, s[0:1], v4, v9
	v_mov_b32_e32 v9, v12
	v_addc_co_u32_e64 v4, s[0:1], v13, v10, s[0:1]
	v_mad_u64_u32 v[9:10], s[0:1], s3, v14, v[9:10]
	v_add_u32_e32 v10, 0x1dc, v3
	v_lshlrev_b64 v[7:8], 3, v[7:8]
	v_mad_u64_u32 v[13:14], s[0:1], s2, v10, 0
	v_add_co_u32_e64 v22, s[0:1], v0, v7
	v_mov_b32_e32 v12, v9
	v_addc_co_u32_e64 v23, s[0:1], v4, v8, s[0:1]
	v_lshlrev_b64 v[8:9], 3, v[11:12]
	v_mov_b32_e32 v7, v14
	v_mad_u64_u32 v[10:11], s[0:1], s3, v10, v[7:8]
	v_add_u32_e32 v7, 51, v3
	v_mad_u64_u32 v[11:12], s[0:1], s2, v7, 0
	v_add_co_u32_e64 v24, s[0:1], v0, v8
	v_mov_b32_e32 v14, v10
	v_mov_b32_e32 v10, v12
	v_addc_co_u32_e64 v25, s[0:1], v4, v9, s[0:1]
	v_lshlrev_b64 v[8:9], 3, v[13:14]
	v_mad_u64_u32 v[12:13], s[0:1], s3, v7, v[10:11]
	v_add_u32_e32 v15, 0x121, v3
	v_mad_u64_u32 v[13:14], s[0:1], s2, v15, 0
	v_add_co_u32_e64 v26, s[0:1], v0, v8
	v_mov_b32_e32 v10, v14
	v_addc_co_u32_e64 v27, s[0:1], v4, v9, s[0:1]
	v_lshlrev_b64 v[8:9], 3, v[11:12]
	v_mad_u64_u32 v[10:11], s[0:1], s3, v15, v[10:11]
	v_add_u32_e32 v15, 0x20f, v3
	v_mad_u64_u32 v[11:12], s[0:1], s2, v15, 0
	v_add_co_u32_e64 v28, s[0:1], v0, v8
	v_mov_b32_e32 v14, v10
	v_addc_co_u32_e64 v29, s[0:1], v4, v9, s[0:1]
	v_lshlrev_b64 v[9:10], 3, v[13:14]
	v_mov_b32_e32 v8, v12
	v_mad_u64_u32 v[12:13], s[0:1], s3, v15, v[8:9]
	v_add_u32_e32 v8, 0x66, v3
	v_mad_u64_u32 v[13:14], s[0:1], s2, v8, 0
	v_add_co_u32_e64 v30, s[0:1], v0, v9
	v_addc_co_u32_e64 v31, s[0:1], v4, v10, s[0:1]
	v_lshlrev_b64 v[9:10], 3, v[11:12]
	v_mov_b32_e32 v11, v14
	v_mad_u64_u32 v[11:12], s[0:1], s3, v8, v[11:12]
	v_add_u32_e32 v12, 0x154, v3
	v_mad_u64_u32 v[15:16], s[0:1], s2, v12, 0
	v_add_co_u32_e64 v32, s[0:1], v0, v9
	v_mov_b32_e32 v14, v11
	v_mov_b32_e32 v11, v16
	v_addc_co_u32_e64 v33, s[0:1], v4, v10, s[0:1]
	v_mad_u64_u32 v[11:12], s[0:1], s3, v12, v[11:12]
	v_lshlrev_b64 v[9:10], 3, v[13:14]
	v_add_u32_e32 v14, 0x242, v3
	v_mad_u64_u32 v[12:13], s[0:1], s2, v14, 0
	v_add_co_u32_e64 v50, s[0:1], v0, v9
	v_mov_b32_e32 v16, v11
	v_addc_co_u32_e64 v51, s[0:1], v4, v10, s[0:1]
	v_lshlrev_b64 v[10:11], 3, v[15:16]
	v_mov_b32_e32 v9, v13
	v_mad_u64_u32 v[13:14], s[0:1], s3, v14, v[9:10]
	v_add_u32_e32 v9, 0x99, v3
	v_mad_u64_u32 v[14:15], s[0:1], s2, v9, 0
	v_add_co_u32_e64 v10, s[0:1], v0, v10
	v_addc_co_u32_e64 v11, s[0:1], v4, v11, s[0:1]
	v_mad_u64_u32 v[15:16], s[0:1], s3, v9, v[15:16]
	v_add_u32_e32 v18, 0x187, v3
	v_mad_u64_u32 v[16:17], s[0:1], s2, v18, 0
	v_lshlrev_b64 v[12:13], 3, v[12:13]
	v_add_u32_e32 v20, 0x275, v3
	v_add_co_u32_e64 v12, s[0:1], v0, v12
	v_addc_co_u32_e64 v13, s[0:1], v4, v13, s[0:1]
	v_mad_u64_u32 v[17:18], s[0:1], s3, v18, v[17:18]
	v_mad_u64_u32 v[18:19], s[0:1], s2, v20, 0
	v_lshlrev_b64 v[14:15], 3, v[14:15]
	v_add_co_u32_e64 v52, s[0:1], v0, v14
	v_addc_co_u32_e64 v53, s[0:1], v4, v15, s[0:1]
	v_lshlrev_b64 v[14:15], 3, v[16:17]
	v_mov_b32_e32 v16, v19
	v_mad_u64_u32 v[16:17], s[0:1], s3, v20, v[16:17]
	v_add_co_u32_e64 v54, s[0:1], v0, v14
	v_mov_b32_e32 v19, v16
	v_addc_co_u32_e64 v55, s[0:1], v4, v15, s[0:1]
	v_lshlrev_b64 v[14:15], 3, v[18:19]
	v_add_co_u32_e64 v56, s[0:1], v0, v14
	v_addc_co_u32_e64 v57, s[0:1], v4, v15, s[0:1]
	global_load_dwordx2 v[14:15], v[22:23], off
	global_load_dwordx2 v[46:47], v[24:25], off
	;; [unrolled: 1-line block ×12, first 2 shown]
	v_cmp_gt_u32_e64 s[0:1], 34, v3
                                        ; implicit-def: $vgpr54
                                        ; implicit-def: $vgpr56
                                        ; implicit-def: $vgpr22
	s_and_saveexec_b64 s[8:9], s[0:1]
	s_cbranch_execz .LBB0_14
; %bb.13:
	v_add_u32_e32 v22, 0xcc, v3
	v_add_u32_e32 v24, 0x1ba, v3
	v_mad_u64_u32 v[10:11], s[0:1], s2, v22, 0
	v_mad_u64_u32 v[12:13], s[0:1], s2, v24, 0
	v_add_u32_e32 v25, 0x2a8, v3
	v_mad_u64_u32 v[22:23], s[0:1], s3, v22, v[11:12]
	v_mov_b32_e32 v11, v22
	s_waitcnt vmcnt(11)
	v_mad_u64_u32 v[22:23], s[0:1], s3, v24, v[13:14]
	v_mad_u64_u32 v[23:24], s[0:1], s2, v25, 0
	v_lshlrev_b64 v[10:11], 3, v[10:11]
	v_mov_b32_e32 v13, v22
	v_add_co_u32_e64 v10, s[0:1], v0, v10
	v_mov_b32_e32 v22, v24
	v_addc_co_u32_e64 v11, s[0:1], v4, v11, s[0:1]
	v_mad_u64_u32 v[24:25], s[0:1], s3, v25, v[22:23]
	v_lshlrev_b64 v[12:13], 3, v[12:13]
	v_add_co_u32_e64 v12, s[0:1], v0, v12
	v_lshlrev_b64 v[22:23], 3, v[23:24]
	v_addc_co_u32_e64 v13, s[0:1], v4, v13, s[0:1]
	v_add_co_u32_e64 v24, s[0:1], v0, v22
	v_addc_co_u32_e64 v25, s[0:1], v4, v23, s[0:1]
	global_load_dwordx2 v[22:23], v[10:11], off
	global_load_dwordx2 v[54:55], v[12:13], off
	;; [unrolled: 1-line block ×3, first 2 shown]
.LBB0_14:
	s_or_b64 exec, exec, s[8:9]
.LBB0_15:
	s_or_b64 exec, exec, s[6:7]
	s_waitcnt vmcnt(10)
	v_add_f32_e32 v0, v14, v46
	s_waitcnt vmcnt(9)
	v_add_f32_e32 v10, v0, v48
	v_add_f32_e32 v0, v46, v48
	v_fmac_f32_e32 v14, -0.5, v0
	v_sub_f32_e32 v0, v47, v49
	v_mov_b32_e32 v11, v14
	v_fmac_f32_e32 v11, 0xbf5db3d7, v0
	v_fmac_f32_e32 v14, 0x3f5db3d7, v0
	s_waitcnt vmcnt(6)
	v_add_f32_e32 v0, v42, v44
	v_add_f32_e32 v4, v20, v42
	v_fmac_f32_e32 v20, -0.5, v0
	v_sub_f32_e32 v0, v43, v45
	v_mov_b32_e32 v30, v20
	s_waitcnt vmcnt(3)
	v_add_f32_e32 v12, v36, v40
	v_fmac_f32_e32 v30, 0xbf5db3d7, v0
	v_fmac_f32_e32 v20, 0x3f5db3d7, v0
	v_add_f32_e32 v0, v18, v36
	v_fmac_f32_e32 v18, -0.5, v12
	v_add_f32_e32 v28, v0, v40
	v_mov_b32_e32 v29, v18
	v_sub_f32_e32 v0, v37, v41
	v_fmac_f32_e32 v29, 0xbf5db3d7, v0
	v_fmac_f32_e32 v18, 0x3f5db3d7, v0
	s_waitcnt vmcnt(0)
	v_add_f32_e32 v0, v34, v38
	v_add_f32_e32 v12, v16, v34
	v_fmac_f32_e32 v16, -0.5, v0
	v_sub_f32_e32 v0, v35, v39
	v_mov_b32_e32 v24, v16
	v_add_f32_e32 v13, v56, v54
	v_fmac_f32_e32 v24, 0xbf5db3d7, v0
	v_fmac_f32_e32 v16, 0x3f5db3d7, v0
	v_add_f32_e32 v0, v22, v54
	v_fmac_f32_e32 v22, -0.5, v13
	v_add_f32_e32 v26, v56, v0
	v_mov_b32_e32 v27, v22
	v_sub_f32_e32 v0, v55, v57
	v_fmac_f32_e32 v27, 0xbf5db3d7, v0
	v_fmac_f32_e32 v22, 0x3f5db3d7, v0
	v_mad_u32_u24 v0, v3, 12, 0
	v_add_f32_e32 v53, v4, v44
	v_mad_i32_i24 v4, v7, 12, 0
	ds_write2_b32 v0, v10, v11 offset1:1
	ds_write_b32 v0, v14 offset:8
	ds_write2_b32 v4, v53, v30 offset1:1
	ds_write_b32 v4, v20 offset:8
	v_mad_i32_i24 v4, v8, 12, 0
	ds_write2_b32 v4, v28, v29 offset1:1
	ds_write_b32 v4, v18 offset:8
	v_add_f32_e32 v33, v12, v38
	v_mad_i32_i24 v4, v9, 12, 0
	v_cmp_gt_u32_e64 s[2:3], 34, v3
	ds_write2_b32 v4, v33, v24 offset1:1
	ds_write_b32 v4, v16 offset:8
	s_and_saveexec_b64 s[0:1], s[2:3]
	s_cbranch_execz .LBB0_17
; %bb.16:
	v_add_u32_e32 v4, 0x990, v0
	ds_write2_b32 v4, v26, v27 offset1:1
	ds_write_b32 v0, v22 offset:2456
.LBB0_17:
	s_or_b64 exec, exec, s[0:1]
	v_mul_i32_i24_e32 v59, 12, v7
	v_mul_i32_i24_e32 v58, 12, v8
	;; [unrolled: 1-line block ×3, first 2 shown]
	v_cmp_gt_u32_e64 s[0:1], 42, v3
	s_waitcnt lgkmcnt(0)
	; wave barrier
	s_waitcnt lgkmcnt(0)
                                        ; implicit-def: $vgpr62
                                        ; implicit-def: $vgpr51
	s_and_saveexec_b64 s[6:7], s[0:1]
	s_cbranch_execz .LBB0_19
; %bb.18:
	v_lshlrev_b32_e32 v10, 3, v3
	v_sub_u32_e32 v12, v0, v10
	v_add_u32_e32 v13, 0x200, v12
	ds_read2_b32 v[10:11], v12 offset1:42
	ds_read2_b32 v[52:53], v12 offset0:84 offset1:126
	ds_read2_b32 v[30:31], v12 offset0:168 offset1:210
	;; [unrolled: 1-line block ×3, first 2 shown]
	v_add_u32_e32 v13, 0x400, v12
	ds_read2_b32 v[32:33], v13 offset0:80 offset1:122
	ds_read2_b32 v[24:25], v13 offset0:164 offset1:206
	v_add_u32_e32 v13, 0x600, v12
	ds_read2_b32 v[26:27], v13 offset0:120 offset1:162
	v_add_u32_e32 v13, 0x800, v12
	ds_read2_b32 v[50:51], v13 offset0:76 offset1:118
	ds_read_b32 v62, v12 offset:2688
	s_waitcnt lgkmcnt(0)
	v_mov_b32_e32 v14, v52
	v_mov_b32_e32 v20, v31
	;; [unrolled: 1-line block ×5, first 2 shown]
.LBB0_19:
	s_or_b64 exec, exec, s[6:7]
	v_add_f32_e32 v13, v47, v49
	v_add_f32_e32 v12, v15, v47
	v_fmac_f32_e32 v15, -0.5, v13
	v_sub_f32_e32 v25, v46, v48
	v_mov_b32_e32 v13, v15
	v_fmac_f32_e32 v13, 0x3f5db3d7, v25
	v_fmac_f32_e32 v15, 0xbf5db3d7, v25
	v_add_f32_e32 v25, v21, v43
	v_add_f32_e32 v46, v25, v45
	v_add_f32_e32 v25, v43, v45
	v_fmac_f32_e32 v21, -0.5, v25
	v_sub_f32_e32 v25, v42, v44
	v_mov_b32_e32 v47, v21
	v_fmac_f32_e32 v47, 0x3f5db3d7, v25
	v_fmac_f32_e32 v21, 0xbf5db3d7, v25
	v_add_f32_e32 v25, v19, v37
	;; [unrolled: 8-line block ×4, first 2 shown]
	v_add_f32_e32 v36, v57, v25
	v_add_f32_e32 v25, v57, v55
	v_fmac_f32_e32 v23, -0.5, v25
	v_sub_f32_e32 v25, v54, v56
	v_mov_b32_e32 v37, v23
	v_add_f32_e32 v12, v12, v49
	v_fmac_f32_e32 v37, 0x3f5db3d7, v25
	v_fmac_f32_e32 v23, 0xbf5db3d7, v25
	v_add_u32_e32 v25, 0, v59
	s_waitcnt lgkmcnt(0)
	; wave barrier
	s_waitcnt lgkmcnt(0)
	ds_write2_b32 v0, v12, v13 offset1:1
	ds_write_b32 v0, v15 offset:8
	ds_write2_b32 v25, v46, v47 offset1:1
	ds_write_b32 v25, v21 offset:8
	v_add_u32_e32 v25, 0, v58
	v_add_u32_e32 v4, 0, v4
	ds_write2_b32 v25, v42, v43 offset1:1
	ds_write_b32 v25, v19 offset:8
	ds_write2_b32 v4, v32, v34 offset1:1
	ds_write_b32 v4, v17 offset:8
	s_and_saveexec_b64 s[6:7], s[2:3]
	s_cbranch_execz .LBB0_21
; %bb.20:
	v_add_u32_e32 v4, 0x990, v0
	ds_write2_b32 v4, v36, v37 offset1:1
	ds_write_b32 v0, v23 offset:2456
.LBB0_21:
	s_or_b64 exec, exec, s[6:7]
	v_lshl_add_u32 v0, v3, 2, 0
	s_waitcnt lgkmcnt(0)
	; wave barrier
	s_waitcnt lgkmcnt(0)
                                        ; implicit-def: $vgpr63
                                        ; implicit-def: $vgpr39
	s_and_saveexec_b64 s[2:3], s[0:1]
	s_cbranch_execz .LBB0_23
; %bb.22:
	v_add_u32_e32 v4, 0x200, v0
	ds_read2_b32 v[12:13], v0 offset1:42
	ds_read2_b32 v[45:46], v0 offset0:84 offset1:126
	ds_read2_b32 v[47:48], v0 offset0:168 offset1:210
	;; [unrolled: 1-line block ×3, first 2 shown]
	v_add_u32_e32 v4, 0x400, v0
	ds_read2_b32 v[31:32], v4 offset0:80 offset1:122
	ds_read2_b32 v[34:35], v4 offset0:164 offset1:206
	v_add_u32_e32 v15, 0x800, v0
	v_add_u32_e32 v4, 0x600, v0
	ds_read2_b32 v[38:39], v15 offset0:76 offset1:118
	ds_read2_b32 v[36:37], v4 offset0:120 offset1:162
	ds_read_b32 v63, v0 offset:2688
	s_waitcnt lgkmcnt(4)
	v_mov_b32_e32 v19, v31
	s_waitcnt lgkmcnt(3)
	v_mov_b32_e32 v17, v35
	;; [unrolled: 2-line block ×3, first 2 shown]
	v_mov_b32_e32 v21, v48
	v_mov_b32_e32 v15, v45
.LBB0_23:
	s_or_b64 exec, exec, s[2:3]
	s_movk_i32 s2, 0xab
	v_mul_lo_u16_sdwa v4, v3, s2 dst_sel:DWORD dst_unused:UNUSED_PAD src0_sel:BYTE_0 src1_sel:DWORD
	v_lshrrev_b16_e32 v4, 9, v4
	v_mul_lo_u16_e32 v25, 3, v4
	v_sub_u16_e32 v25, v3, v25
	v_mov_b32_e32 v31, 7
	v_lshlrev_b32_sdwa v31, v31, v25 dst_sel:DWORD dst_unused:UNUSED_PAD src0_sel:DWORD src1_sel:BYTE_0
	global_load_dwordx4 v[54:57], v31, s[12:13] offset:16
	global_load_dwordx4 v[58:61], v31, s[12:13] offset:32
	;; [unrolled: 1-line block ×4, first 2 shown]
	global_load_dwordx4 v[72:75], v31, s[12:13]
	global_load_dwordx4 v[76:79], v31, s[12:13] offset:80
	global_load_dwordx4 v[80:83], v31, s[12:13] offset:96
	;; [unrolled: 1-line block ×3, first 2 shown]
	s_waitcnt lgkmcnt(0)
	; wave barrier
	s_waitcnt vmcnt(7) lgkmcnt(0)
	v_mul_f32_e32 v50, v46, v55
	v_mul_f32_e32 v35, v53, v55
	;; [unrolled: 1-line block ×4, first 2 shown]
	s_waitcnt vmcnt(6)
	v_mul_f32_e32 v44, v21, v59
	v_fmac_f32_e32 v50, v53, v54
	v_fma_f32 v53, v46, v54, -v35
	v_fmac_f32_e32 v48, v30, v56
	v_mul_f32_e32 v38, v20, v59
	v_fma_f32 v49, v47, v56, -v31
	v_mul_f32_e32 v41, v42, v61
	v_mul_f32_e32 v40, v28, v61
	s_waitcnt vmcnt(5)
	v_mul_f32_e32 v35, v43, v65
	v_mul_f32_e32 v46, v29, v65
	;; [unrolled: 1-line block ×4, first 2 shown]
	v_fmac_f32_e32 v44, v20, v58
	s_waitcnt vmcnt(4)
	v_mul_f32_e32 v31, v32, v69
	v_mul_f32_e32 v20, v33, v69
	v_fma_f32 v45, v21, v58, -v38
	v_fmac_f32_e32 v41, v28, v60
	v_fma_f32 v42, v42, v60, -v40
	v_mul_f32_e32 v38, v34, v71
	v_mul_f32_e32 v21, v24, v71
	s_waitcnt vmcnt(3)
	v_mul_f32_e32 v59, v13, v73
	v_mul_f32_e32 v55, v11, v73
	v_fmac_f32_e32 v35, v29, v64
	v_mul_f32_e32 v56, v15, v75
	v_mul_f32_e32 v58, v14, v75
	v_fma_f32 v40, v43, v64, -v46
	s_waitcnt vmcnt(2)
	v_mul_f32_e32 v43, v17, v77
	v_mul_f32_e32 v64, v16, v77
	v_fmac_f32_e32 v30, v18, v66
	v_fma_f32 v28, v19, v66, -v47
	v_mul_f32_e32 v46, v36, v79
	v_mul_f32_e32 v18, v26, v79
	s_waitcnt vmcnt(1)
	v_mul_f32_e32 v52, v37, v81
	v_mul_f32_e32 v19, v27, v81
	;; [unrolled: 1-line block ×4, first 2 shown]
	v_fmac_f32_e32 v31, v33, v68
	s_waitcnt vmcnt(0)
	v_mul_f32_e32 v57, v39, v85
	v_mul_f32_e32 v33, v51, v85
	v_fma_f32 v29, v32, v68, -v20
	v_mul_f32_e32 v60, v63, v87
	v_mul_f32_e32 v20, v62, v87
	v_fmac_f32_e32 v38, v24, v70
	v_fma_f32 v32, v34, v70, -v21
	v_fmac_f32_e32 v56, v14, v74
	v_fma_f32 v58, v15, v74, -v58
	v_fmac_f32_e32 v59, v11, v72
	v_fma_f32 v61, v13, v72, -v55
	v_fmac_f32_e32 v43, v16, v76
	v_fma_f32 v34, v17, v76, -v64
	v_fmac_f32_e32 v46, v26, v78
	v_fma_f32 v47, v36, v78, -v18
	v_fmac_f32_e32 v52, v27, v80
	v_fma_f32 v37, v37, v80, -v19
	v_fmac_f32_e32 v54, v22, v82
	v_fma_f32 v55, v23, v82, -v65
	v_fmac_f32_e32 v57, v51, v84
	v_fma_f32 v51, v39, v84, -v33
	v_fmac_f32_e32 v60, v62, v86
	v_fma_f32 v62, v63, v86, -v20
	s_and_saveexec_b64 s[2:3], s[0:1]
	s_cbranch_execz .LBB0_25
; %bb.24:
	v_sub_f32_e32 v13, v61, v62
	v_add_f32_e32 v11, v59, v60
	v_mul_f32_e32 v14, 0xbe3c28d5, v13
	s_mov_b32 s6, 0xbf7ba420
	v_sub_f32_e32 v17, v58, v51
	v_fma_f32 v15, v11, s6, -v14
	v_add_f32_e32 v16, v56, v57
	v_mul_f32_e32 v18, 0x3eb8f4ab, v17
	s_mov_b32 s8, 0x3f6eb680
	v_add_f32_e32 v15, v10, v15
	v_fma_f32 v19, v16, s8, -v18
	v_sub_f32_e32 v20, v53, v55
	v_add_f32_e32 v15, v19, v15
	v_add_f32_e32 v19, v50, v54
	v_mul_f32_e32 v21, 0xbf06c442, v20
	s_mov_b32 s7, 0xbf59a7d5
	v_fma_f32 v22, v19, s7, -v21
	v_sub_f32_e32 v23, v49, v37
	v_fmac_f32_e32 v14, 0xbf7ba420, v11
	v_add_f32_e32 v15, v22, v15
	v_add_f32_e32 v22, v48, v52
	v_mul_f32_e32 v24, 0x3f2c7751, v23
	s_mov_b32 s14, 0x3f3d2fb0
	v_add_f32_e32 v14, v10, v14
	v_fmac_f32_e32 v18, 0x3f6eb680, v16
	v_fma_f32 v26, v22, s14, -v24
	v_sub_f32_e32 v27, v45, v47
	v_add_f32_e32 v14, v18, v14
	v_fmac_f32_e32 v21, 0xbf59a7d5, v19
	v_add_f32_e32 v15, v26, v15
	v_add_f32_e32 v26, v44, v46
	v_mul_f32_e32 v33, 0xbf4c4adb, v27
	s_mov_b32 s9, 0xbf1a4643
	v_add_f32_e32 v14, v21, v14
	v_fmac_f32_e32 v24, 0x3f3d2fb0, v22
	v_mul_f32_e32 v18, 0xbf06c442, v13
	v_fma_f32 v36, v26, s9, -v33
	s_mov_b32 s15, 0x3ee437d1
	v_sub_f32_e32 v39, v42, v34
	v_add_f32_e32 v14, v24, v14
	v_fmac_f32_e32 v33, 0xbf1a4643, v26
	v_fma_f32 v21, v11, s7, -v18
	v_mul_f32_e32 v24, 0x3f65296c, v17
	v_add_f32_e32 v15, v36, v15
	v_add_f32_e32 v36, v41, v43
	v_mul_f32_e32 v63, 0x3f65296c, v39
	v_add_f32_e32 v14, v33, v14
	v_add_f32_e32 v21, v10, v21
	v_fma_f32 v33, v16, s15, -v24
	v_fma_f32 v64, v36, s15, -v63
	v_sub_f32_e32 v65, v40, v32
	s_mov_b32 s17, 0x3dbcf732
	v_fmac_f32_e32 v63, 0x3ee437d1, v36
	v_add_f32_e32 v21, v33, v21
	v_mul_f32_e32 v33, 0xbf7ee86f, v20
	v_add_f32_e32 v15, v64, v15
	s_mov_b32 s16, 0xbe8c1d8e
	v_add_f32_e32 v64, v35, v38
	v_mul_f32_e32 v66, 0xbf763a35, v65
	v_add_f32_e32 v14, v63, v14
	v_fma_f32 v63, v19, s17, -v33
	v_fmac_f32_e32 v18, 0xbf59a7d5, v11
	v_fma_f32 v67, v64, s16, -v66
	v_sub_f32_e32 v68, v28, v29
	v_fmac_f32_e32 v66, 0xbe8c1d8e, v64
	v_add_f32_e32 v21, v63, v21
	v_mul_f32_e32 v63, 0x3f4c4adb, v23
	v_add_f32_e32 v18, v10, v18
	v_fmac_f32_e32 v24, 0x3ee437d1, v16
	v_add_f32_e32 v15, v67, v15
	v_add_f32_e32 v67, v30, v31
	v_mul_f32_e32 v69, 0x3f7ee86f, v68
	v_add_f32_e32 v14, v66, v14
	v_fma_f32 v66, v22, s9, -v63
	v_add_f32_e32 v18, v24, v18
	v_fmac_f32_e32 v33, 0x3dbcf732, v19
	v_fma_f32 v70, v67, s17, -v69
	v_fmac_f32_e32 v69, 0x3dbcf732, v67
	v_add_f32_e32 v21, v66, v21
	v_mul_f32_e32 v66, 0xbeb8f4ab, v27
	v_add_f32_e32 v18, v33, v18
	v_fmac_f32_e32 v63, 0xbf1a4643, v22
	v_mul_f32_e32 v24, 0xbf4c4adb, v13
	v_add_f32_e32 v14, v69, v14
	v_fma_f32 v69, v26, s8, -v66
	v_add_f32_e32 v18, v63, v18
	v_fmac_f32_e32 v66, 0x3f6eb680, v26
	v_fma_f32 v33, v11, s9, -v24
	v_mul_f32_e32 v63, 0x3f763a35, v17
	v_add_f32_e32 v21, v69, v21
	v_mul_f32_e32 v69, 0xbe3c28d5, v39
	v_add_f32_e32 v18, v66, v18
	v_add_f32_e32 v33, v10, v33
	v_fma_f32 v66, v16, s16, -v63
	v_add_f32_e32 v15, v70, v15
	v_fma_f32 v70, v36, s6, -v69
	v_fmac_f32_e32 v69, 0xbf7ba420, v36
	v_add_f32_e32 v33, v66, v33
	v_mul_f32_e32 v66, 0xbeb8f4ab, v20
	v_add_f32_e32 v21, v70, v21
	v_mul_f32_e32 v70, 0x3f2c7751, v65
	v_add_f32_e32 v18, v69, v18
	v_fma_f32 v69, v19, s8, -v66
	v_fmac_f32_e32 v24, 0xbf1a4643, v11
	v_fma_f32 v71, v64, s14, -v70
	v_fmac_f32_e32 v70, 0x3f3d2fb0, v64
	v_add_f32_e32 v33, v69, v33
	v_mul_f32_e32 v69, 0xbf06c442, v23
	v_add_f32_e32 v24, v10, v24
	v_fmac_f32_e32 v63, 0xbe8c1d8e, v16
	v_add_f32_e32 v21, v71, v21
	v_mul_f32_e32 v71, 0xbf763a35, v68
	v_add_f32_e32 v18, v70, v18
	v_fma_f32 v70, v22, s7, -v69
	v_add_f32_e32 v24, v63, v24
	v_fmac_f32_e32 v66, 0x3f6eb680, v19
	v_fma_f32 v72, v67, s16, -v71
	v_fmac_f32_e32 v71, 0xbe8c1d8e, v67
	v_add_f32_e32 v33, v70, v33
	v_mul_f32_e32 v70, 0x3f7ee86f, v27
	v_add_f32_e32 v24, v66, v24
	v_fmac_f32_e32 v69, 0xbf59a7d5, v22
	v_mul_f32_e32 v63, 0xbf763a35, v13
	v_add_f32_e32 v18, v71, v18
	v_fma_f32 v71, v26, s17, -v70
	v_add_f32_e32 v24, v69, v24
	v_fmac_f32_e32 v70, 0x3dbcf732, v26
	v_fma_f32 v66, v11, s16, -v63
	v_mul_f32_e32 v69, 0x3f06c442, v17
	v_add_f32_e32 v33, v71, v33
	v_mul_f32_e32 v71, 0xbf2c7751, v39
	v_add_f32_e32 v24, v70, v24
	v_add_f32_e32 v66, v10, v66
	v_fma_f32 v70, v16, s7, -v69
	v_add_f32_e32 v21, v72, v21
	v_fma_f32 v72, v36, s14, -v71
	v_fmac_f32_e32 v71, 0x3f3d2fb0, v36
	v_add_f32_e32 v66, v70, v66
	v_mul_f32_e32 v70, 0x3f2c7751, v20
	v_add_f32_e32 v33, v72, v33
	v_mul_f32_e32 v72, 0xbe3c28d5, v65
	v_add_f32_e32 v24, v71, v24
	v_fma_f32 v71, v19, s14, -v70
	v_fmac_f32_e32 v63, 0xbe8c1d8e, v11
	v_fma_f32 v73, v64, s6, -v72
	v_fmac_f32_e32 v72, 0xbf7ba420, v64
	v_add_f32_e32 v66, v71, v66
	v_mul_f32_e32 v71, 0xbf65296c, v23
	v_add_f32_e32 v63, v10, v63
	v_fmac_f32_e32 v69, 0xbf59a7d5, v16
	;; [unrolled: 40-line block ×4, first 2 shown]
	v_add_f32_e32 v70, v77, v70
	v_mul_f32_e32 v77, 0x3f2c7751, v68
	v_add_f32_e32 v69, v76, v69
	v_fma_f32 v76, v22, s16, -v75
	v_add_f32_e32 v71, v73, v71
	v_fmac_f32_e32 v74, 0xbf7ba420, v19
	v_fma_f32 v78, v67, s14, -v77
	v_fmac_f32_e32 v77, 0x3f3d2fb0, v67
	v_add_f32_e32 v72, v76, v72
	v_mul_f32_e32 v76, 0x3f2c7751, v27
	v_add_f32_e32 v71, v74, v71
	v_fmac_f32_e32 v75, 0xbe8c1d8e, v22
	v_mul_f32_e32 v73, 0xbf2c7751, v13
	v_add_f32_e32 v69, v77, v69
	v_fma_f32 v77, v26, s14, -v76
	v_add_f32_e32 v71, v75, v71
	v_fmac_f32_e32 v76, 0x3f3d2fb0, v26
	v_fma_f32 v74, v11, s14, -v73
	v_mul_f32_e32 v75, 0xbf7ee86f, v17
	v_fmac_f32_e32 v73, 0x3f3d2fb0, v11
	v_add_f32_e32 v71, v76, v71
	v_fma_f32 v76, v16, s17, -v75
	v_add_f32_e32 v73, v10, v73
	v_fmac_f32_e32 v75, 0x3dbcf732, v16
	v_mul_f32_e32 v13, 0xbeb8f4ab, v13
	v_add_f32_e32 v73, v75, v73
	v_fma_f32 v75, v11, s8, -v13
	v_fmac_f32_e32 v13, 0x3f6eb680, v11
	v_add_f32_e32 v74, v10, v74
	v_add_f32_e32 v75, v10, v75
	;; [unrolled: 1-line block ×6, first 2 shown]
	v_mul_f32_e32 v77, 0xbeb8f4ab, v39
	v_add_f32_e32 v10, v10, v50
	v_add_f32_e32 v70, v78, v70
	v_fma_f32 v78, v36, s8, -v77
	v_fmac_f32_e32 v77, 0x3f6eb680, v36
	v_add_f32_e32 v74, v76, v74
	v_mul_f32_e32 v76, 0xbf4c4adb, v20
	v_add_f32_e32 v10, v10, v48
	v_add_f32_e32 v72, v78, v72
	v_mul_f32_e32 v78, 0xbf7ee86f, v65
	v_add_f32_e32 v71, v77, v71
	v_fma_f32 v77, v19, s9, -v76
	v_add_f32_e32 v10, v10, v44
	v_fma_f32 v79, v64, s17, -v78
	v_fmac_f32_e32 v78, 0x3dbcf732, v64
	v_add_f32_e32 v74, v77, v74
	v_mul_f32_e32 v77, 0xbe3c28d5, v23
	v_add_f32_e32 v10, v10, v41
	v_add_f32_e32 v72, v79, v72
	v_mul_f32_e32 v79, 0xbf06c442, v68
	v_add_f32_e32 v71, v78, v71
	v_fma_f32 v78, v22, s6, -v77
	v_add_f32_e32 v10, v10, v35
	v_fma_f32 v80, v67, s7, -v79
	v_fmac_f32_e32 v79, 0xbf59a7d5, v67
	v_add_f32_e32 v74, v78, v74
	v_mul_f32_e32 v78, 0x3f06c442, v27
	v_fmac_f32_e32 v76, 0xbf1a4643, v19
	v_mul_f32_e32 v17, 0xbf2c7751, v17
	v_add_f32_e32 v10, v10, v30
	v_add_f32_e32 v71, v79, v71
	v_fma_f32 v79, v26, s7, -v78
	v_add_f32_e32 v73, v76, v73
	v_fma_f32 v76, v16, s14, -v17
	v_mul_f32_e32 v20, 0xbf65296c, v20
	v_fmac_f32_e32 v17, 0x3f3d2fb0, v16
	v_add_f32_e32 v10, v10, v31
	v_add_f32_e32 v74, v79, v74
	v_mul_f32_e32 v79, 0x3f763a35, v39
	v_add_f32_e32 v75, v76, v75
	v_fma_f32 v76, v19, s15, -v20
	v_mul_f32_e32 v23, 0xbf7ee86f, v23
	v_add_f32_e32 v11, v17, v11
	v_fmac_f32_e32 v20, 0x3ee437d1, v19
	v_add_f32_e32 v10, v10, v38
	v_add_f32_e32 v72, v80, v72
	v_fma_f32 v80, v36, s16, -v79
	v_add_f32_e32 v75, v76, v75
	v_fma_f32 v76, v22, s17, -v23
	v_mul_f32_e32 v27, 0xbf763a35, v27
	v_add_f32_e32 v11, v20, v11
	v_fmac_f32_e32 v23, 0x3dbcf732, v22
	v_add_f32_e32 v10, v10, v43
	v_add_f32_e32 v74, v80, v74
	v_mul_f32_e32 v80, 0x3f65296c, v65
	v_fmac_f32_e32 v77, 0xbf7ba420, v22
	v_add_f32_e32 v75, v76, v75
	v_fma_f32 v76, v26, s16, -v27
	v_mul_f32_e32 v39, 0xbf4c4adb, v39
	v_add_f32_e32 v11, v23, v11
	v_fmac_f32_e32 v27, 0xbe8c1d8e, v26
	v_add_f32_e32 v10, v10, v46
	v_fma_f32 v81, v64, s15, -v80
	v_add_f32_e32 v73, v77, v73
	v_fmac_f32_e32 v78, 0xbf59a7d5, v26
	v_add_f32_e32 v75, v76, v75
	v_fma_f32 v76, v36, s9, -v39
	v_mul_f32_e32 v65, 0xbf06c442, v65
	v_add_f32_e32 v11, v27, v11
	v_fmac_f32_e32 v39, 0xbf1a4643, v36
	v_add_f32_e32 v10, v10, v52
	v_add_f32_e32 v74, v81, v74
	v_mul_f32_e32 v81, 0x3eb8f4ab, v68
	v_add_f32_e32 v73, v78, v73
	v_fmac_f32_e32 v79, 0xbe8c1d8e, v36
	v_add_f32_e32 v75, v76, v75
	v_fma_f32 v76, v64, s7, -v65
	v_mul_f32_e32 v68, 0xbe3c28d5, v68
	v_add_f32_e32 v11, v39, v11
	v_fmac_f32_e32 v65, 0xbf59a7d5, v64
	v_add_f32_e32 v10, v10, v54
	v_mov_b32_e32 v16, 2
	v_add_f32_e32 v73, v79, v73
	v_fmac_f32_e32 v80, 0x3ee437d1, v64
	v_add_f32_e32 v75, v76, v75
	v_fma_f32 v76, v67, s6, -v68
	v_add_f32_e32 v11, v65, v11
	v_fmac_f32_e32 v68, 0xbf7ba420, v67
	v_add_f32_e32 v10, v10, v57
	v_mul_u32_u24_e32 v13, 0xcc, v4
	v_lshlrev_b32_sdwa v16, v16, v25 dst_sel:DWORD dst_unused:UNUSED_PAD src0_sel:DWORD src1_sel:BYTE_0
	v_fma_f32 v82, v67, s8, -v81
	v_add_f32_e32 v73, v80, v73
	v_fmac_f32_e32 v81, 0x3f6eb680, v67
	v_add_f32_e32 v11, v68, v11
	v_add_f32_e32 v10, v10, v60
	v_add3_u32 v13, 0, v13, v16
	v_add_f32_e32 v74, v82, v74
	v_add_f32_e32 v73, v81, v73
	;; [unrolled: 1-line block ×3, first 2 shown]
	ds_write2_b32 v13, v10, v11 offset1:3
	ds_write2_b32 v13, v73, v71 offset0:6 offset1:9
	ds_write2_b32 v13, v69, v63 offset0:12 offset1:15
	;; [unrolled: 1-line block ×7, first 2 shown]
	ds_write_b32 v13, v75 offset:192
.LBB0_25:
	s_or_b64 exec, exec, s[2:3]
	v_lshl_add_u32 v23, v8, 2, 0
	v_add_u32_e32 v26, 0x400, v0
	v_add_u32_e32 v27, 0x600, v0
	;; [unrolled: 1-line block ×3, first 2 shown]
	s_waitcnt lgkmcnt(0)
	; wave barrier
	s_waitcnt lgkmcnt(0)
	ds_read2_b32 v[10:11], v0 offset1:153
	ds_read2_b32 v[19:20], v0 offset0:204 offset1:255
	ds_read2_b32 v[21:22], v26 offset0:50 offset1:101
	;; [unrolled: 1-line block ×5, first 2 shown]
	v_lshl_add_u32 v24, v7, 2, 0
	ds_read_b32 v39, v23
	ds_read_b32 v36, v24
	s_waitcnt lgkmcnt(0)
	; wave barrier
	s_waitcnt lgkmcnt(0)
	s_and_saveexec_b64 s[2:3], s[0:1]
	s_cbranch_execz .LBB0_27
; %bb.26:
	v_add_f32_e32 v63, v12, v61
	v_add_f32_e32 v63, v63, v58
	;; [unrolled: 1-line block ×16, first 2 shown]
	v_sub_f32_e32 v59, v59, v60
	v_mul_f32_e32 v60, 0x3f6eb680, v61
	v_mul_f32_e32 v64, 0x3f3d2fb0, v61
	;; [unrolled: 1-line block ×8, first 2 shown]
	v_add_f32_e32 v51, v58, v51
	v_add_f32_e32 v63, v63, v62
	v_mov_b32_e32 v62, v60
	v_fmac_f32_e32 v60, 0xbeb8f4ab, v59
	v_mov_b32_e32 v65, v64
	v_mov_b32_e32 v67, v66
	;; [unrolled: 1-line block ×7, first 2 shown]
	v_sub_f32_e32 v56, v56, v57
	v_mul_f32_e32 v57, 0x3f3d2fb0, v51
	v_fmac_f32_e32 v62, 0x3eb8f4ab, v59
	v_add_f32_e32 v60, v12, v60
	v_fmac_f32_e32 v65, 0x3f2c7751, v59
	v_fmac_f32_e32 v64, 0xbf2c7751, v59
	;; [unrolled: 1-line block ×14, first 2 shown]
	v_mov_b32_e32 v58, v57
	v_fmac_f32_e32 v57, 0xbf2c7751, v56
	v_mul_f32_e32 v59, 0x3dbcf732, v51
	v_add_f32_e32 v62, v12, v62
	v_add_f32_e32 v65, v12, v65
	;; [unrolled: 1-line block ×15, first 2 shown]
	v_fmac_f32_e32 v58, 0x3f2c7751, v56
	v_add_f32_e32 v57, v57, v60
	v_mov_b32_e32 v60, v59
	v_fmac_f32_e32 v59, 0xbf7ee86f, v56
	v_mul_f32_e32 v61, 0xbf1a4643, v51
	v_add_f32_e32 v58, v58, v62
	v_fmac_f32_e32 v60, 0x3f7ee86f, v56
	v_add_f32_e32 v59, v59, v64
	v_mov_b32_e32 v62, v61
	v_fmac_f32_e32 v61, 0xbf4c4adb, v56
	v_mul_f32_e32 v64, 0xbf7ba420, v51
	v_add_f32_e32 v60, v60, v65
	;; [unrolled: 6-line block ×4, first 2 shown]
	v_add_f32_e32 v66, v66, v70
	v_mov_b32_e32 v69, v68
	v_fmac_f32_e32 v68, 0x3f763a35, v56
	v_mul_f32_e32 v70, 0x3ee437d1, v51
	v_mul_f32_e32 v51, 0x3f6eb680, v51
	v_add_f32_e32 v68, v68, v72
	v_mov_b32_e32 v72, v51
	v_fmac_f32_e32 v51, 0x3eb8f4ab, v56
	v_add_f32_e32 v12, v51, v12
	v_add_f32_e32 v51, v53, v55
	v_fmac_f32_e32 v67, 0xbf06c442, v56
	v_sub_f32_e32 v50, v50, v54
	v_mul_f32_e32 v53, 0x3ee437d1, v51
	v_add_f32_e32 v67, v67, v71
	v_mov_b32_e32 v71, v70
	v_mov_b32_e32 v54, v53
	v_fmac_f32_e32 v53, 0xbf65296c, v50
	v_mul_f32_e32 v55, 0xbf1a4643, v51
	v_fmac_f32_e32 v69, 0xbf763a35, v56
	v_fmac_f32_e32 v71, 0xbf65296c, v56
	;; [unrolled: 1-line block ×5, first 2 shown]
	v_add_f32_e32 v53, v53, v57
	v_mov_b32_e32 v56, v55
	v_fmac_f32_e32 v55, 0xbf4c4adb, v50
	v_mul_f32_e32 v57, 0xbf7ba420, v51
	v_add_f32_e32 v54, v54, v58
	v_fmac_f32_e32 v56, 0x3f4c4adb, v50
	v_add_f32_e32 v55, v55, v59
	v_mov_b32_e32 v58, v57
	v_fmac_f32_e32 v57, 0x3e3c28d5, v50
	v_mul_f32_e32 v59, 0xbe8c1d8e, v51
	v_add_f32_e32 v56, v56, v60
	v_fmac_f32_e32 v58, 0xbe3c28d5, v50
	;; [unrolled: 6-line block ×4, first 2 shown]
	v_add_f32_e32 v61, v61, v66
	v_mov_b32_e32 v65, v64
	v_fmac_f32_e32 v64, 0xbeb8f4ab, v50
	v_mul_f32_e32 v66, 0x3dbcf732, v51
	v_mul_f32_e32 v51, 0xbf59a7d5, v51
	v_add_f32_e32 v37, v49, v37
	v_add_f32_e32 v62, v62, v67
	;; [unrolled: 1-line block ×3, first 2 shown]
	v_mov_b32_e32 v67, v66
	v_mov_b32_e32 v68, v51
	v_fmac_f32_e32 v51, 0xbf06c442, v50
	v_sub_f32_e32 v48, v48, v52
	v_mul_f32_e32 v49, 0x3dbcf732, v37
	v_fmac_f32_e32 v65, 0x3eb8f4ab, v50
	v_fmac_f32_e32 v67, 0x3f7ee86f, v50
	;; [unrolled: 1-line block ×4, first 2 shown]
	v_add_f32_e32 v12, v51, v12
	v_mov_b32_e32 v50, v49
	v_fmac_f32_e32 v49, 0xbf7ee86f, v48
	v_mul_f32_e32 v51, 0xbf7ba420, v37
	v_fmac_f32_e32 v50, 0x3f7ee86f, v48
	v_add_f32_e32 v49, v49, v53
	v_mov_b32_e32 v52, v51
	v_fmac_f32_e32 v51, 0xbe3c28d5, v48
	v_mul_f32_e32 v53, 0xbe8c1d8e, v37
	v_add_f32_e32 v50, v50, v54
	v_fmac_f32_e32 v52, 0x3e3c28d5, v48
	v_add_f32_e32 v51, v51, v55
	v_mov_b32_e32 v54, v53
	v_fmac_f32_e32 v53, 0x3f763a35, v48
	v_mul_f32_e32 v55, 0x3f6eb680, v37
	v_add_f32_e32 v52, v52, v56
	;; [unrolled: 6-line block ×4, first 2 shown]
	v_add_f32_e32 v57, v57, v61
	v_mov_b32_e32 v60, v59
	v_fmac_f32_e32 v59, 0xbf06c442, v48
	v_mul_f32_e32 v61, 0xbf1a4643, v37
	v_mul_f32_e32 v37, 0x3f3d2fb0, v37
	v_add_f32_e32 v59, v59, v64
	v_mov_b32_e32 v64, v37
	v_fmac_f32_e32 v37, 0x3f2c7751, v48
	v_add_f32_e32 v12, v37, v12
	v_add_f32_e32 v37, v45, v47
	v_fmac_f32_e32 v58, 0x3f65296c, v48
	v_sub_f32_e32 v44, v44, v46
	v_mul_f32_e32 v45, 0xbe8c1d8e, v37
	v_add_f32_e32 v58, v58, v62
	v_mov_b32_e32 v62, v61
	v_mov_b32_e32 v46, v45
	v_fmac_f32_e32 v45, 0xbf763a35, v44
	v_mul_f32_e32 v47, 0xbf59a7d5, v37
	v_fmac_f32_e32 v60, 0x3f06c442, v48
	v_fmac_f32_e32 v62, 0xbf4c4adb, v48
	;; [unrolled: 1-line block ×5, first 2 shown]
	v_add_f32_e32 v45, v45, v49
	v_mov_b32_e32 v48, v47
	v_fmac_f32_e32 v47, 0x3f06c442, v44
	v_mul_f32_e32 v49, 0x3f3d2fb0, v37
	v_add_f32_e32 v46, v46, v50
	v_fmac_f32_e32 v48, 0xbf06c442, v44
	v_add_f32_e32 v47, v47, v51
	v_mov_b32_e32 v50, v49
	v_fmac_f32_e32 v49, 0x3f2c7751, v44
	v_mul_f32_e32 v51, 0x3ee437d1, v37
	v_add_f32_e32 v48, v48, v52
	v_fmac_f32_e32 v50, 0xbf2c7751, v44
	;; [unrolled: 6-line block ×3, first 2 shown]
	v_add_f32_e32 v51, v51, v55
	v_mov_b32_e32 v54, v53
	v_fmac_f32_e32 v53, 0xbe3c28d5, v44
	v_mul_f32_e32 v55, 0x3dbcf732, v37
	v_add_f32_e32 v52, v52, v56
	v_add_f32_e32 v53, v53, v57
	v_mov_b32_e32 v56, v55
	v_fmac_f32_e32 v55, 0x3f7ee86f, v44
	v_mul_f32_e32 v57, 0x3f6eb680, v37
	v_mul_f32_e32 v37, 0xbf1a4643, v37
	v_add_f32_e32 v55, v55, v59
	v_mov_b32_e32 v59, v37
	v_fmac_f32_e32 v37, 0xbf4c4adb, v44
	v_add_f32_e32 v34, v42, v34
	v_fmac_f32_e32 v54, 0x3e3c28d5, v44
	v_add_f32_e32 v12, v37, v12
	v_sub_f32_e32 v37, v41, v43
	v_mul_f32_e32 v41, 0xbf1a4643, v34
	v_add_f32_e32 v54, v54, v58
	v_mov_b32_e32 v58, v57
	v_mov_b32_e32 v42, v41
	v_fmac_f32_e32 v41, 0xbf4c4adb, v37
	v_mul_f32_e32 v43, 0xbe8c1d8e, v34
	v_fmac_f32_e32 v56, 0xbf7ee86f, v44
	v_fmac_f32_e32 v58, 0x3eb8f4ab, v44
	;; [unrolled: 1-line block ×5, first 2 shown]
	v_add_f32_e32 v41, v41, v45
	v_mov_b32_e32 v44, v43
	v_fmac_f32_e32 v43, 0x3f763a35, v37
	v_mul_f32_e32 v45, 0x3f6eb680, v34
	v_add_f32_e32 v42, v42, v46
	v_fmac_f32_e32 v44, 0xbf763a35, v37
	v_add_f32_e32 v43, v43, v47
	v_mov_b32_e32 v46, v45
	v_fmac_f32_e32 v45, 0xbeb8f4ab, v37
	v_mul_f32_e32 v47, 0xbf59a7d5, v34
	v_add_f32_e32 v44, v44, v48
	v_fmac_f32_e32 v46, 0x3eb8f4ab, v37
	;; [unrolled: 6-line block ×3, first 2 shown]
	v_add_f32_e32 v47, v47, v51
	v_mov_b32_e32 v50, v49
	v_fmac_f32_e32 v49, 0x3f7ee86f, v37
	v_mul_f32_e32 v51, 0x3f3d2fb0, v34
	v_add_f32_e32 v48, v48, v52
	v_add_f32_e32 v49, v49, v53
	v_mov_b32_e32 v52, v51
	v_fmac_f32_e32 v51, 0xbf2c7751, v37
	v_mul_f32_e32 v53, 0xbf7ba420, v34
	v_mul_f32_e32 v34, 0x3ee437d1, v34
	v_fmac_f32_e32 v50, 0xbf7ee86f, v37
	v_add_f32_e32 v51, v51, v55
	v_mov_b32_e32 v55, v34
	v_fmac_f32_e32 v34, 0x3f65296c, v37
	v_add_f32_e32 v32, v40, v32
	v_add_f32_e32 v50, v50, v54
	v_mov_b32_e32 v54, v53
	v_add_f32_e32 v12, v34, v12
	v_sub_f32_e32 v34, v35, v38
	v_mul_f32_e32 v35, 0xbf59a7d5, v32
	v_fmac_f32_e32 v52, 0x3f2c7751, v37
	v_fmac_f32_e32 v54, 0x3e3c28d5, v37
	;; [unrolled: 1-line block ×4, first 2 shown]
	v_mov_b32_e32 v37, v35
	v_fmac_f32_e32 v35, 0xbf06c442, v34
	v_mul_f32_e32 v38, 0x3ee437d1, v32
	v_fmac_f32_e32 v37, 0x3f06c442, v34
	v_add_f32_e32 v35, v35, v41
	v_mov_b32_e32 v40, v38
	v_fmac_f32_e32 v38, 0x3f65296c, v34
	v_mul_f32_e32 v41, 0x3dbcf732, v32
	v_add_f32_e32 v37, v37, v42
	v_fmac_f32_e32 v40, 0xbf65296c, v34
	v_add_f32_e32 v38, v38, v43
	v_mov_b32_e32 v42, v41
	v_fmac_f32_e32 v41, 0xbf7ee86f, v34
	v_mul_f32_e32 v43, 0xbf1a4643, v32
	v_add_f32_e32 v40, v40, v44
	;; [unrolled: 6-line block ×4, first 2 shown]
	v_add_f32_e32 v45, v45, v49
	v_mov_b32_e32 v48, v47
	v_fmac_f32_e32 v47, 0xbe3c28d5, v34
	v_mul_f32_e32 v49, 0x3f3d2fb0, v32
	v_mul_f32_e32 v32, 0xbe8c1d8e, v32
	v_add_f32_e32 v28, v28, v29
	v_fmac_f32_e32 v46, 0x3eb8f4ab, v34
	v_add_f32_e32 v47, v47, v51
	v_mov_b32_e32 v51, v32
	v_fmac_f32_e32 v32, 0xbf763a35, v34
	v_sub_f32_e32 v29, v30, v31
	v_mul_f32_e32 v30, 0xbf7ba420, v28
	v_add_f32_e32 v46, v46, v50
	v_mov_b32_e32 v50, v49
	v_add_f32_e32 v12, v32, v12
	v_mov_b32_e32 v31, v30
	v_fmac_f32_e32 v30, 0xbe3c28d5, v29
	v_mul_f32_e32 v32, 0x3f6eb680, v28
	v_fmac_f32_e32 v48, 0x3e3c28d5, v34
	v_fmac_f32_e32 v50, 0xbf2c7751, v34
	;; [unrolled: 1-line block ×5, first 2 shown]
	v_add_f32_e32 v30, v30, v35
	v_mov_b32_e32 v34, v32
	v_fmac_f32_e32 v32, 0x3eb8f4ab, v29
	v_mul_f32_e32 v35, 0xbf59a7d5, v28
	v_add_f32_e32 v31, v31, v37
	v_fmac_f32_e32 v34, 0xbeb8f4ab, v29
	v_add_f32_e32 v32, v32, v38
	v_mov_b32_e32 v37, v35
	v_fmac_f32_e32 v35, 0xbf06c442, v29
	v_mul_f32_e32 v38, 0x3f3d2fb0, v28
	v_add_f32_e32 v34, v34, v40
	v_fmac_f32_e32 v37, 0x3f06c442, v29
	v_add_f32_e32 v35, v35, v41
	v_mov_b32_e32 v40, v38
	v_fmac_f32_e32 v38, 0x3f2c7751, v29
	v_mul_f32_e32 v41, 0xbf1a4643, v28
	v_add_f32_e32 v69, v69, v73
	v_add_f32_e32 v71, v71, v75
	;; [unrolled: 1-line block ×5, first 2 shown]
	v_fmac_f32_e32 v40, 0xbf2c7751, v29
	v_add_f32_e32 v38, v38, v43
	v_mov_b32_e32 v42, v41
	v_fmac_f32_e32 v41, 0xbf4c4adb, v29
	v_mul_f32_e32 v43, 0x3ee437d1, v28
	v_add_f32_e32 v65, v65, v69
	v_add_f32_e32 v67, v67, v71
	;; [unrolled: 1-line block ×6, first 2 shown]
	v_mov_b32_e32 v44, v43
	v_fmac_f32_e32 v43, 0x3f65296c, v29
	v_mul_f32_e32 v45, 0xbe8c1d8e, v28
	v_mul_f32_e32 v28, 0x3dbcf732, v28
	v_add_f32_e32 v60, v60, v65
	v_add_f32_e32 v62, v62, v67
	;; [unrolled: 1-line block ×5, first 2 shown]
	v_mov_b32_e32 v47, v28
	v_fmac_f32_e32 v28, 0x3f7ee86f, v29
	v_add_f32_e32 v56, v56, v60
	v_add_f32_e32 v58, v58, v62
	;; [unrolled: 1-line block ×4, first 2 shown]
	v_fmac_f32_e32 v42, 0x3f4c4adb, v29
	v_add_f32_e32 v12, v28, v12
	v_mov_b32_e32 v28, 2
	v_add_f32_e32 v52, v52, v56
	v_add_f32_e32 v54, v54, v58
	;; [unrolled: 1-line block ×5, first 2 shown]
	v_mov_b32_e32 v46, v45
	v_mul_u32_u24_e32 v4, 0xcc, v4
	v_lshlrev_b32_sdwa v25, v28, v25 dst_sel:DWORD dst_unused:UNUSED_PAD src0_sel:DWORD src1_sel:BYTE_0
	v_add_f32_e32 v48, v48, v52
	v_add_f32_e32 v50, v50, v54
	;; [unrolled: 1-line block ×4, first 2 shown]
	v_fmac_f32_e32 v44, 0xbf65296c, v29
	v_fmac_f32_e32 v46, 0x3f763a35, v29
	v_fmac_f32_e32 v45, 0xbf763a35, v29
	v_fmac_f32_e32 v47, 0xbf7ee86f, v29
	v_add3_u32 v4, 0, v4, v25
	v_add_f32_e32 v44, v44, v48
	v_add_f32_e32 v46, v46, v50
	v_add_f32_e32 v45, v45, v49
	v_add_f32_e32 v47, v47, v51
	ds_write2_b32 v4, v63, v31 offset1:3
	ds_write2_b32 v4, v34, v37 offset0:6 offset1:9
	ds_write2_b32 v4, v40, v42 offset0:12 offset1:15
	;; [unrolled: 1-line block ×7, first 2 shown]
	ds_write_b32 v4, v30 offset:192
.LBB0_27:
	s_or_b64 exec, exec, s[2:3]
	v_mul_u32_u24_e32 v4, 6, v3
	v_lshlrev_b32_e32 v4, 3, v4
	s_waitcnt lgkmcnt(0)
	; wave barrier
	s_waitcnt lgkmcnt(0)
	global_load_dwordx4 v[28:31], v4, s[12:13] offset:384
	global_load_dwordx4 v[40:43], v4, s[12:13] offset:400
	;; [unrolled: 1-line block ×3, first 2 shown]
	ds_read2_b32 v[34:35], v0 offset1:153
	ds_read2_b32 v[37:38], v0 offset0:204 offset1:255
	ds_read2_b32 v[48:49], v26 offset0:50 offset1:101
	ds_read_b32 v4, v23
	ds_read2_b32 v[50:51], v26 offset0:152 offset1:203
	ds_read2_b32 v[52:53], v27 offset0:126 offset1:177
	;; [unrolled: 1-line block ×3, first 2 shown]
	ds_read_b32 v12, v24
	s_mov_b32 s0, 0xbf5ff5aa
	s_mov_b32 s1, 0x3f3bfb3b
	s_mov_b32 s2, 0xbf3bfb3b
	s_mov_b32 s3, 0x3eae86e6
	s_waitcnt lgkmcnt(0)
	; wave barrier
	s_waitcnt vmcnt(2) lgkmcnt(0)
	v_mul_f32_e32 v25, v4, v29
	v_mul_f32_e32 v32, v39, v29
	;; [unrolled: 1-line block ×3, first 2 shown]
	s_waitcnt vmcnt(0)
	v_mul_f32_e32 v62, v52, v45
	v_mul_f32_e32 v64, v54, v47
	;; [unrolled: 1-line block ×11, first 2 shown]
	v_fmac_f32_e32 v25, v39, v28
	v_fma_f32 v4, v4, v28, -v32
	v_fmac_f32_e32 v56, v19, v30
	v_fmac_f32_e32 v62, v15, v44
	;; [unrolled: 1-line block ×3, first 2 shown]
	v_fma_f32 v17, v54, v46, -v65
	v_mul_f32_e32 v67, v38, v31
	v_mul_f32_e32 v31, v20, v31
	v_fma_f32 v19, v37, v30, -v57
	v_fmac_f32_e32 v58, v21, v40
	v_fma_f32 v21, v48, v40, -v59
	v_fmac_f32_e32 v60, v13, v42
	v_fma_f32 v13, v50, v42, -v61
	v_fma_f32 v15, v52, v44, -v63
	v_fmac_f32_e32 v66, v11, v28
	v_fma_f32 v11, v35, v28, -v29
	v_add_f32_e32 v28, v25, v64
	v_add_f32_e32 v29, v4, v17
	v_sub_f32_e32 v4, v4, v17
	v_add_f32_e32 v17, v56, v62
	v_fmac_f32_e32 v67, v20, v30
	v_fma_f32 v20, v38, v30, -v31
	v_add_f32_e32 v30, v19, v15
	v_sub_f32_e32 v15, v19, v15
	v_add_f32_e32 v19, v58, v60
	v_add_f32_e32 v32, v21, v13
	v_sub_f32_e32 v13, v13, v21
	v_add_f32_e32 v21, v17, v28
	v_add_f32_e32 v37, v30, v29
	v_sub_f32_e32 v38, v17, v28
	v_sub_f32_e32 v28, v28, v19
	;; [unrolled: 1-line block ×3, first 2 shown]
	v_add_f32_e32 v19, v19, v21
	v_mul_f32_e32 v68, v49, v41
	v_mul_f32_e32 v41, v22, v41
	;; [unrolled: 1-line block ×6, first 2 shown]
	v_sub_f32_e32 v25, v25, v64
	v_sub_f32_e32 v31, v56, v62
	;; [unrolled: 1-line block ×3, first 2 shown]
	v_add_f32_e32 v21, v32, v37
	v_add_f32_e32 v10, v10, v19
	v_fmac_f32_e32 v68, v22, v40
	v_fma_f32 v22, v49, v40, -v41
	v_fmac_f32_e32 v69, v14, v42
	v_fma_f32 v14, v51, v42, -v43
	;; [unrolled: 2-line block ×3, first 2 shown]
	v_sub_f32_e32 v39, v30, v29
	v_sub_f32_e32 v29, v29, v32
	v_sub_f32_e32 v30, v32, v30
	v_add_f32_e32 v40, v35, v31
	v_add_f32_e32 v41, v13, v15
	v_sub_f32_e32 v42, v35, v31
	v_sub_f32_e32 v43, v13, v15
	v_sub_f32_e32 v31, v31, v25
	v_add_f32_e32 v32, v34, v21
	v_mov_b32_e32 v44, v10
	v_sub_f32_e32 v35, v25, v35
	v_sub_f32_e32 v13, v4, v13
	;; [unrolled: 1-line block ×3, first 2 shown]
	v_add_f32_e32 v25, v40, v25
	v_add_f32_e32 v4, v41, v4
	v_mul_f32_e32 v28, 0x3f4a47b2, v28
	v_mul_f32_e32 v29, 0x3f4a47b2, v29
	;; [unrolled: 1-line block ×7, first 2 shown]
	v_fmac_f32_e32 v44, 0xbf955555, v19
	v_mov_b32_e32 v19, v32
	v_mul_f32_e32 v71, v55, v47
	v_mul_f32_e32 v47, v18, v47
	;; [unrolled: 1-line block ×3, first 2 shown]
	v_fmac_f32_e32 v19, 0xbf955555, v21
	v_fma_f32 v21, v38, s1, -v34
	v_fma_f32 v34, v39, s1, -v37
	;; [unrolled: 1-line block ×3, first 2 shown]
	v_fmac_f32_e32 v28, 0x3d64c772, v17
	v_fma_f32 v17, v39, s2, -v29
	v_fmac_f32_e32 v29, 0x3d64c772, v30
	v_fma_f32 v30, v31, s0, -v40
	v_fma_f32 v15, v15, s0, -v41
	v_fmac_f32_e32 v41, 0xbeae86e6, v13
	v_fma_f32 v31, v35, s3, -v42
	v_fmac_f32_e32 v71, v18, v46
	;; [unrolled: 2-line block ×3, first 2 shown]
	v_fma_f32 v13, v13, s3, -v43
	v_add_f32_e32 v28, v28, v44
	v_add_f32_e32 v21, v21, v44
	;; [unrolled: 1-line block ×3, first 2 shown]
	v_fmac_f32_e32 v41, 0xbee1c552, v4
	v_fmac_f32_e32 v15, 0xbee1c552, v4
	;; [unrolled: 1-line block ×3, first 2 shown]
	v_add_f32_e32 v34, v34, v19
	v_fmac_f32_e32 v40, 0xbee1c552, v25
	v_fmac_f32_e32 v30, 0xbee1c552, v25
	;; [unrolled: 1-line block ×3, first 2 shown]
	v_add_f32_e32 v4, v41, v28
	v_sub_f32_e32 v38, v17, v31
	v_sub_f32_e32 v25, v21, v15
	v_add_f32_e32 v15, v15, v21
	v_add_f32_e32 v31, v31, v17
	v_sub_f32_e32 v17, v28, v41
	v_add_f32_e32 v21, v66, v71
	v_add_f32_e32 v28, v11, v18
	;; [unrolled: 3-line block ×3, first 2 shown]
	v_sub_f32_e32 v34, v34, v30
	v_add_f32_e32 v30, v20, v16
	v_sub_f32_e32 v16, v20, v16
	v_add_f32_e32 v20, v68, v69
	v_add_f32_e32 v41, v22, v14
	v_sub_f32_e32 v14, v14, v22
	v_add_f32_e32 v22, v18, v21
	v_add_f32_e32 v35, v37, v44
	;; [unrolled: 1-line block ×3, first 2 shown]
	v_sub_f32_e32 v44, v18, v21
	v_sub_f32_e32 v21, v21, v20
	;; [unrolled: 1-line block ×3, first 2 shown]
	v_add_f32_e32 v20, v20, v22
	v_add_f32_e32 v29, v29, v19
	;; [unrolled: 1-line block ×4, first 2 shown]
	v_sub_f32_e32 v37, v29, v40
	v_add_f32_e32 v19, v13, v35
	v_sub_f32_e32 v13, v35, v13
	v_add_f32_e32 v35, v40, v29
	v_sub_f32_e32 v29, v66, v71
	v_sub_f32_e32 v40, v67, v70
	;; [unrolled: 1-line block ×6, first 2 shown]
	v_add_f32_e32 v47, v14, v16
	v_sub_f32_e32 v49, v14, v16
	v_add_f32_e32 v41, v12, v22
	v_mov_b32_e32 v50, v36
	v_add_f32_e32 v46, v42, v40
	v_sub_f32_e32 v48, v42, v40
	v_sub_f32_e32 v14, v11, v14
	;; [unrolled: 1-line block ×4, first 2 shown]
	v_add_f32_e32 v11, v47, v11
	v_mul_f32_e32 v12, 0x3f4a47b2, v21
	v_mul_f32_e32 v21, 0x3f4a47b2, v28
	;; [unrolled: 1-line block ×4, first 2 shown]
	v_fmac_f32_e32 v50, 0xbf955555, v20
	v_mov_b32_e32 v20, v41
	v_sub_f32_e32 v42, v29, v42
	v_add_f32_e32 v29, v46, v29
	v_mul_f32_e32 v43, 0x3d64c772, v30
	v_mul_f32_e32 v46, 0x3f08b237, v48
	;; [unrolled: 1-line block ×4, first 2 shown]
	v_fmac_f32_e32 v20, 0xbf955555, v22
	v_fma_f32 v22, v44, s1, -v28
	v_fma_f32 v16, v16, s0, -v47
	;; [unrolled: 1-line block ×4, first 2 shown]
	v_fmac_f32_e32 v12, 0x3d64c772, v18
	v_fma_f32 v18, v45, s2, -v21
	v_fmac_f32_e32 v21, 0x3d64c772, v30
	v_fma_f32 v30, v40, s0, -v46
	v_fmac_f32_e32 v46, 0xbeae86e6, v42
	v_fmac_f32_e32 v47, 0xbeae86e6, v14
	v_fma_f32 v40, v42, s3, -v48
	v_fma_f32 v14, v14, s3, -v49
	v_add_f32_e32 v22, v22, v50
	v_fmac_f32_e32 v16, 0xbee1c552, v11
	v_add_f32_e32 v12, v12, v50
	v_add_f32_e32 v42, v43, v50
	v_fmac_f32_e32 v46, 0xbee1c552, v29
	v_fmac_f32_e32 v47, 0xbee1c552, v11
	;; [unrolled: 1-line block ×5, first 2 shown]
	v_sub_f32_e32 v29, v22, v16
	v_add_f32_e32 v21, v21, v20
	v_add_f32_e32 v28, v28, v20
	;; [unrolled: 1-line block ×6, first 2 shown]
	v_sub_f32_e32 v14, v42, v14
	v_sub_f32_e32 v12, v12, v47
	ds_write2_b32 v0, v10, v4 offset1:51
	ds_write2_b32 v0, v19, v25 offset0:102 offset1:153
	ds_write2_b32 v0, v15, v13 offset0:204 offset1:255
	;; [unrolled: 1-line block ×6, first 2 shown]
	v_lshl_add_u32 v29, v9, 2, 0
	v_sub_f32_e32 v43, v21, v46
	v_add_f32_e32 v45, v30, v28
	v_sub_f32_e32 v48, v28, v30
	v_add_f32_e32 v42, v46, v21
	s_waitcnt lgkmcnt(0)
	; wave barrier
	s_waitcnt lgkmcnt(0)
	ds_read2_b32 v[11:12], v0 offset1:204
	ds_read2_b32 v[13:14], v26 offset0:101 offset1:152
	ds_read_b32 v25, v29
	ds_read_b32 v28, v0 offset:2652
	ds_read_b32 v21, v24
	ds_read_b32 v22, v23
	ds_read2_b32 v[15:16], v26 offset0:203 offset1:254
	ds_read2_b32 v[19:20], v33 offset0:49 offset1:100
	v_add_u32_e32 v30, 0x200, v0
	v_sub_f32_e32 v44, v18, v40
	v_add_f32_e32 v40, v40, v18
	ds_read2_b32 v[17:18], v30 offset0:127 offset1:178
	s_waitcnt lgkmcnt(0)
	; wave barrier
	s_waitcnt lgkmcnt(0)
	ds_write2_b32 v0, v32, v37 offset1:51
	ds_write2_b32 v0, v38, v39 offset0:102 offset1:153
	ds_write2_b32 v0, v34, v31 offset0:204 offset1:255
	;; [unrolled: 1-line block ×6, first 2 shown]
	s_waitcnt lgkmcnt(0)
	; wave barrier
	s_waitcnt lgkmcnt(0)
	s_and_saveexec_b64 s[0:1], vcc
	s_cbranch_execz .LBB0_29
; %bb.28:
	v_mov_b32_e32 v4, 0
	v_mov_b32_e32 v10, v4
	v_lshlrev_b64 v[9:10], 3, v[9:10]
	v_lshlrev_b64 v[26:27], 3, v[3:4]
	v_add_co_u32_e64 v32, s[0:1], s12, v9
	v_mov_b32_e32 v9, v4
	v_mov_b32_e32 v42, s13
	v_lshlrev_b64 v[8:9], 3, v[8:9]
	v_addc_co_u32_e64 v33, s[0:1], v42, v10, s[0:1]
	v_add_co_u32_e32 v26, vcc, s12, v26
	v_add_co_u32_e64 v8, s[0:1], s12, v8
	v_addc_co_u32_e32 v27, vcc, v42, v27, vcc
	v_addc_co_u32_e64 v9, s[0:1], v42, v9, s[0:1]
	global_load_dwordx2 v[34:35], v[32:33], off offset:2832
	global_load_dwordx2 v[36:37], v[8:9], off offset:2832
	v_mov_b32_e32 v8, v4
	v_add_co_u32_e32 v31, vcc, 0x1000, v26
	v_lshlrev_b64 v[7:8], 3, v[7:8]
	v_addc_co_u32_e32 v32, vcc, 0, v27, vcc
	v_add_co_u32_e32 v7, vcc, s12, v7
	global_load_dwordx2 v[9:10], v[31:32], off offset:1184
	global_load_dwordx2 v[38:39], v[31:32], off offset:776
	global_load_dwordx2 v[40:41], v[31:32], off offset:368
	v_addc_co_u32_e32 v8, vcc, v42, v8, vcc
	global_load_dwordx2 v[31:32], v[7:8], off offset:2832
	global_load_dwordx2 v[42:43], v[26:27], off offset:2832
	v_mul_lo_u32 v33, s4, v6
	ds_read2_b32 v[6:7], v30 offset0:127 offset1:178
	ds_read_b32 v46, v0 offset:2652
	v_mul_lo_u32 v8, s5, v5
	v_mad_u64_u32 v[4:5], s[0:1], s4, v5, 0
	v_add_u32_e32 v30, 0x800, v0
	ds_read2_b32 v[26:27], v0 offset1:204
	v_add_u32_e32 v0, 0x400, v0
	ds_read_b32 v47, v23
	ds_read_b32 v48, v29
	;; [unrolled: 1-line block ×3, first 2 shown]
	ds_read2_b32 v[23:24], v0 offset0:203 offset1:254
	ds_read2_b32 v[29:30], v30 offset0:49 offset1:100
	;; [unrolled: 1-line block ×3, first 2 shown]
	v_add3_u32 v5, v5, v33, v8
	s_mov_b32 s0, 0x16f26017
	v_lshlrev_b64 v[4:5], 3, v[4:5]
	s_movk_i32 s1, 0x2ca
	v_add_co_u32_e32 v4, vcc, s10, v4
	s_waitcnt vmcnt(6)
	v_mul_f32_e32 v0, v16, v35
	s_waitcnt lgkmcnt(2)
	v_mul_f32_e32 v8, v24, v35
	s_waitcnt vmcnt(5)
	v_mul_f32_e32 v33, v15, v37
	v_mul_f32_e32 v35, v23, v37
	v_fma_f32 v0, v24, v34, -v0
	v_fmac_f32_e32 v8, v16, v34
	v_fma_f32 v16, v23, v36, -v33
	v_sub_f32_e32 v8, v25, v8
	s_waitcnt vmcnt(4)
	v_mul_f32_e32 v37, v28, v10
	v_mul_f32_e32 v10, v46, v10
	s_waitcnt vmcnt(2)
	v_mul_f32_e32 v51, v19, v41
	s_waitcnt lgkmcnt(1)
	v_mul_f32_e32 v41, v29, v41
	v_fma_f32 v23, v46, v9, -v37
	v_fmac_f32_e32 v10, v28, v9
	v_sub_f32_e32 v9, v48, v0
	s_waitcnt vmcnt(1)
	v_mul_f32_e32 v0, v14, v32
	v_fma_f32 v28, v29, v40, -v51
	v_fmac_f32_e32 v41, v19, v40
	s_waitcnt lgkmcnt(0)
	v_fma_f32 v0, v45, v31, -v0
	v_sub_f32_e32 v29, v27, v28
	v_sub_f32_e32 v28, v12, v41
	;; [unrolled: 1-line block ×3, first 2 shown]
	v_mul_f32_e32 v0, v45, v32
	v_fmac_f32_e32 v0, v14, v31
	v_sub_f32_e32 v40, v21, v0
	v_mul_hi_u32 v0, v3, s0
	v_mul_f32_e32 v50, v20, v39
	v_mul_f32_e32 v39, v30, v39
	v_sub_f32_e32 v19, v18, v10
	v_lshrrev_b32_e32 v0, 5, v0
	v_mul_u32_u24_e32 v0, 0x165, v0
	v_fma_f32 v24, v30, v38, -v50
	v_fmac_f32_e32 v39, v20, v38
	v_fma_f32 v38, v18, 2.0, -v19
	v_fma_f32 v18, v27, 2.0, -v29
	v_sub_u32_e32 v27, v3, v0
	v_mad_u64_u32 v[30:31], s[2:3], s20, v27, 0
	s_waitcnt vmcnt(0)
	v_mul_f32_e32 v10, v13, v43
	v_fma_f32 v10, v44, v42, -v10
	v_sub_f32_e32 v20, v7, v23
	v_sub_f32_e32 v24, v6, v24
	;; [unrolled: 1-line block ×4, first 2 shown]
	v_mov_b32_e32 v0, v31
	v_fma_f32 v33, v25, 2.0, -v8
	v_fma_f32 v39, v7, 2.0, -v20
	;; [unrolled: 1-line block ×6, first 2 shown]
	v_mad_u64_u32 v[25:26], s[2:3], s21, v27, v[0:1]
	v_mov_b32_e32 v0, s11
	v_mul_f32_e32 v10, v44, v43
	v_addc_co_u32_e32 v5, vcc, v0, v5, vcc
	v_lshlrev_b64 v[0:1], 3, v[1:2]
	v_fmac_f32_e32 v10, v13, v42
	v_fmac_f32_e32 v35, v15, v36
	v_sub_f32_e32 v13, v11, v10
	v_add_co_u32_e32 v32, vcc, v4, v0
	v_add_u32_e32 v10, 0x165, v27
	v_sub_f32_e32 v15, v22, v35
	v_mov_b32_e32 v31, v25
	v_addc_co_u32_e32 v35, vcc, v5, v1, vcc
	v_mad_u64_u32 v[4:5], s[2:3], s20, v10, 0
	v_add_u32_e32 v27, 51, v3
	v_lshlrev_b64 v[0:1], 3, v[30:31]
	v_mul_hi_u32 v30, v27, s0
	v_mov_b32_e32 v2, v5
	v_mad_u64_u32 v[25:26], s[2:3], s21, v10, v[2:3]
	v_lshrrev_b32_e32 v2, 5, v30
	v_mul_u32_u24_e32 v5, 0x165, v2
	v_sub_u32_e32 v5, v27, v5
	v_mad_u32_u24 v10, v2, s1, v5
	v_mad_u64_u32 v[26:27], s[2:3], s20, v10, 0
	v_add_co_u32_e32 v0, vcc, v32, v0
	v_fma_f32 v11, v11, 2.0, -v13
	v_addc_co_u32_e32 v1, vcc, v35, v1, vcc
	v_mov_b32_e32 v5, v25
	v_mov_b32_e32 v2, v27
	global_store_dwordx2 v[0:1], v[11:12], off
	v_lshlrev_b64 v[0:1], 3, v[4:5]
	v_mad_u64_u32 v[4:5], s[2:3], s21, v10, v[2:3]
	v_add_co_u32_e32 v0, vcc, v32, v0
	v_add_u32_e32 v10, 0x165, v10
	v_addc_co_u32_e32 v1, vcc, v35, v1, vcc
	v_mov_b32_e32 v27, v4
	v_mad_u64_u32 v[4:5], s[2:3], s20, v10, 0
	v_add_u32_e32 v12, 0x66, v3
	global_store_dwordx2 v[0:1], v[13:14], off
	v_mul_hi_u32 v13, v12, s0
	v_mov_b32_e32 v2, v5
	v_mad_u64_u32 v[10:11], s[2:3], s21, v10, v[2:3]
	v_lshrrev_b32_e32 v2, 5, v13
	v_mul_u32_u24_e32 v5, 0x165, v2
	v_sub_u32_e32 v5, v12, v5
	v_mad_u32_u24 v13, v2, s1, v5
	v_mad_u64_u32 v[11:12], s[2:3], s20, v13, 0
	v_lshlrev_b64 v[0:1], 3, v[26:27]
	v_fma_f32 v36, v22, 2.0, -v15
	v_add_co_u32_e32 v0, vcc, v32, v0
	v_fma_f32 v22, v49, 2.0, -v41
	v_fma_f32 v21, v21, 2.0, -v40
	v_addc_co_u32_e32 v1, vcc, v35, v1, vcc
	v_mov_b32_e32 v5, v10
	v_mov_b32_e32 v2, v12
	global_store_dwordx2 v[0:1], v[21:22], off
	v_lshlrev_b64 v[0:1], 3, v[4:5]
	v_mad_u64_u32 v[4:5], s[2:3], s21, v13, v[2:3]
	v_add_co_u32_e32 v0, vcc, v32, v0
	v_addc_co_u32_e32 v1, vcc, v35, v1, vcc
	v_mov_b32_e32 v12, v4
	v_add_u32_e32 v10, 0x165, v13
	global_store_dwordx2 v[0:1], v[40:41], off
	v_lshlrev_b64 v[0:1], 3, v[11:12]
	v_mad_u64_u32 v[4:5], s[2:3], s20, v10, 0
	v_add_u32_e32 v12, 0x99, v3
	v_mul_hi_u32 v13, v12, s0
	v_mov_b32_e32 v2, v5
	v_mad_u64_u32 v[10:11], s[2:3], s21, v10, v[2:3]
	v_lshrrev_b32_e32 v2, 5, v13
	v_mul_u32_u24_e32 v5, 0x165, v2
	v_sub_u32_e32 v5, v12, v5
	v_mad_u32_u24 v13, v2, s1, v5
	v_mad_u64_u32 v[11:12], s[2:3], s20, v13, 0
	v_sub_f32_e32 v16, v47, v16
	v_add_co_u32_e32 v0, vcc, v32, v0
	v_fma_f32 v37, v47, 2.0, -v16
	v_addc_co_u32_e32 v1, vcc, v35, v1, vcc
	v_mov_b32_e32 v5, v10
	v_mov_b32_e32 v2, v12
	global_store_dwordx2 v[0:1], v[36:37], off
	v_lshlrev_b64 v[0:1], 3, v[4:5]
	v_mad_u64_u32 v[4:5], s[2:3], s21, v13, v[2:3]
	v_add_co_u32_e32 v0, vcc, v32, v0
	v_addc_co_u32_e32 v1, vcc, v35, v1, vcc
	v_mov_b32_e32 v12, v4
	v_add_u32_e32 v10, 0x165, v13
	global_store_dwordx2 v[0:1], v[15:16], off
	v_lshlrev_b64 v[0:1], 3, v[11:12]
	v_mad_u64_u32 v[4:5], s[2:3], s20, v10, 0
	v_add_u32_e32 v12, 0xcc, v3
	v_mul_hi_u32 v13, v12, s0
	v_mov_b32_e32 v2, v5
	v_mad_u64_u32 v[10:11], s[2:3], s21, v10, v[2:3]
	v_lshrrev_b32_e32 v2, 5, v13
	v_mul_u32_u24_e32 v5, 0x165, v2
	v_sub_u32_e32 v5, v12, v5
	v_mad_u32_u24 v13, v2, s1, v5
	v_mad_u64_u32 v[11:12], s[2:3], s20, v13, 0
	v_add_co_u32_e32 v0, vcc, v32, v0
	v_fma_f32 v34, v48, 2.0, -v9
	v_addc_co_u32_e32 v1, vcc, v35, v1, vcc
	v_mov_b32_e32 v5, v10
	global_store_dwordx2 v[0:1], v[33:34], off
	v_lshlrev_b64 v[0:1], 3, v[4:5]
	v_mov_b32_e32 v2, v12
	v_mad_u64_u32 v[4:5], s[2:3], s21, v13, v[2:3]
	v_add_co_u32_e32 v0, vcc, v32, v0
	v_addc_co_u32_e32 v1, vcc, v35, v1, vcc
	global_store_dwordx2 v[0:1], v[8:9], off
	v_add_u32_e32 v8, 0x165, v13
	v_mov_b32_e32 v12, v4
	v_mad_u64_u32 v[4:5], s[2:3], s20, v8, 0
	v_add_u32_e32 v10, 0xff, v3
	v_lshlrev_b64 v[0:1], 3, v[11:12]
	v_mul_hi_u32 v11, v10, s0
	v_mov_b32_e32 v2, v5
	v_mad_u64_u32 v[8:9], s[2:3], s21, v8, v[2:3]
	v_lshrrev_b32_e32 v2, 5, v11
	v_mul_u32_u24_e32 v5, 0x165, v2
	v_sub_u32_e32 v5, v10, v5
	v_mad_u32_u24 v11, v2, s1, v5
	v_mad_u64_u32 v[9:10], s[2:3], s20, v11, 0
	v_add_co_u32_e32 v0, vcc, v32, v0
	v_addc_co_u32_e32 v1, vcc, v35, v1, vcc
	v_mov_b32_e32 v5, v8
	v_mov_b32_e32 v2, v10
	global_store_dwordx2 v[0:1], v[17:18], off
	v_lshlrev_b64 v[0:1], 3, v[4:5]
	v_mad_u64_u32 v[4:5], s[2:3], s21, v11, v[2:3]
	v_add_u32_e32 v8, 0x165, v11
	v_add_co_u32_e32 v0, vcc, v32, v0
	v_mov_b32_e32 v10, v4
	v_mad_u64_u32 v[4:5], s[2:3], s20, v8, 0
	v_addc_co_u32_e32 v1, vcc, v35, v1, vcc
	v_mov_b32_e32 v2, v5
	global_store_dwordx2 v[0:1], v[28:29], off
	v_lshlrev_b64 v[0:1], 3, v[9:10]
	v_mad_u64_u32 v[8:9], s[2:3], s21, v8, v[2:3]
	v_add_u32_e32 v2, 0x132, v3
	v_mul_hi_u32 v3, v2, s0
	v_add_co_u32_e32 v0, vcc, v32, v0
	v_addc_co_u32_e32 v1, vcc, v35, v1, vcc
	v_mov_b32_e32 v5, v8
	v_lshrrev_b32_e32 v3, 5, v3
	global_store_dwordx2 v[0:1], v[6:7], off
	v_lshlrev_b64 v[0:1], 3, v[4:5]
	v_mul_u32_u24_e32 v4, 0x165, v3
	v_sub_u32_e32 v2, v2, v4
	v_mad_u32_u24 v5, v3, s1, v2
	v_mad_u64_u32 v[2:3], s[0:1], s20, v5, 0
	v_add_u32_e32 v6, 0x165, v5
	v_add_co_u32_e32 v0, vcc, v32, v0
	v_mad_u64_u32 v[3:4], s[0:1], s21, v5, v[3:4]
	v_mad_u64_u32 v[4:5], s[0:1], s20, v6, 0
	v_addc_co_u32_e32 v1, vcc, v35, v1, vcc
	global_store_dwordx2 v[0:1], v[23:24], off
	v_lshlrev_b64 v[0:1], 3, v[2:3]
	v_mov_b32_e32 v2, v5
	v_mad_u64_u32 v[2:3], s[0:1], s21, v6, v[2:3]
	v_add_co_u32_e32 v0, vcc, v32, v0
	v_addc_co_u32_e32 v1, vcc, v35, v1, vcc
	v_mov_b32_e32 v5, v2
	global_store_dwordx2 v[0:1], v[38:39], off
	v_lshlrev_b64 v[0:1], 3, v[4:5]
	v_add_co_u32_e32 v0, vcc, v32, v0
	v_addc_co_u32_e32 v1, vcc, v35, v1, vcc
	global_store_dwordx2 v[0:1], v[19:20], off
.LBB0_29:
	s_endpgm
	.section	.rodata,"a",@progbits
	.p2align	6, 0x0
	.amdhsa_kernel fft_rtc_back_len714_factors_3_17_7_2_wgs_51_tpt_51_halfLds_sp_op_CI_CI_sbrr_dirReg
		.amdhsa_group_segment_fixed_size 0
		.amdhsa_private_segment_fixed_size 0
		.amdhsa_kernarg_size 104
		.amdhsa_user_sgpr_count 6
		.amdhsa_user_sgpr_private_segment_buffer 1
		.amdhsa_user_sgpr_dispatch_ptr 0
		.amdhsa_user_sgpr_queue_ptr 0
		.amdhsa_user_sgpr_kernarg_segment_ptr 1
		.amdhsa_user_sgpr_dispatch_id 0
		.amdhsa_user_sgpr_flat_scratch_init 0
		.amdhsa_user_sgpr_private_segment_size 0
		.amdhsa_uses_dynamic_stack 0
		.amdhsa_system_sgpr_private_segment_wavefront_offset 0
		.amdhsa_system_sgpr_workgroup_id_x 1
		.amdhsa_system_sgpr_workgroup_id_y 0
		.amdhsa_system_sgpr_workgroup_id_z 0
		.amdhsa_system_sgpr_workgroup_info 0
		.amdhsa_system_vgpr_workitem_id 0
		.amdhsa_next_free_vgpr 88
		.amdhsa_next_free_sgpr 32
		.amdhsa_reserve_vcc 1
		.amdhsa_reserve_flat_scratch 0
		.amdhsa_float_round_mode_32 0
		.amdhsa_float_round_mode_16_64 0
		.amdhsa_float_denorm_mode_32 3
		.amdhsa_float_denorm_mode_16_64 3
		.amdhsa_dx10_clamp 1
		.amdhsa_ieee_mode 1
		.amdhsa_fp16_overflow 0
		.amdhsa_exception_fp_ieee_invalid_op 0
		.amdhsa_exception_fp_denorm_src 0
		.amdhsa_exception_fp_ieee_div_zero 0
		.amdhsa_exception_fp_ieee_overflow 0
		.amdhsa_exception_fp_ieee_underflow 0
		.amdhsa_exception_fp_ieee_inexact 0
		.amdhsa_exception_int_div_zero 0
	.end_amdhsa_kernel
	.text
.Lfunc_end0:
	.size	fft_rtc_back_len714_factors_3_17_7_2_wgs_51_tpt_51_halfLds_sp_op_CI_CI_sbrr_dirReg, .Lfunc_end0-fft_rtc_back_len714_factors_3_17_7_2_wgs_51_tpt_51_halfLds_sp_op_CI_CI_sbrr_dirReg
                                        ; -- End function
	.section	.AMDGPU.csdata,"",@progbits
; Kernel info:
; codeLenInByte = 11924
; NumSgprs: 36
; NumVgprs: 88
; ScratchSize: 0
; MemoryBound: 0
; FloatMode: 240
; IeeeMode: 1
; LDSByteSize: 0 bytes/workgroup (compile time only)
; SGPRBlocks: 4
; VGPRBlocks: 21
; NumSGPRsForWavesPerEU: 36
; NumVGPRsForWavesPerEU: 88
; Occupancy: 2
; WaveLimiterHint : 1
; COMPUTE_PGM_RSRC2:SCRATCH_EN: 0
; COMPUTE_PGM_RSRC2:USER_SGPR: 6
; COMPUTE_PGM_RSRC2:TRAP_HANDLER: 0
; COMPUTE_PGM_RSRC2:TGID_X_EN: 1
; COMPUTE_PGM_RSRC2:TGID_Y_EN: 0
; COMPUTE_PGM_RSRC2:TGID_Z_EN: 0
; COMPUTE_PGM_RSRC2:TIDIG_COMP_CNT: 0
	.type	__hip_cuid_7acaee3b04961c5e,@object ; @__hip_cuid_7acaee3b04961c5e
	.section	.bss,"aw",@nobits
	.globl	__hip_cuid_7acaee3b04961c5e
__hip_cuid_7acaee3b04961c5e:
	.byte	0                               ; 0x0
	.size	__hip_cuid_7acaee3b04961c5e, 1

	.ident	"AMD clang version 19.0.0git (https://github.com/RadeonOpenCompute/llvm-project roc-6.4.0 25133 c7fe45cf4b819c5991fe208aaa96edf142730f1d)"
	.section	".note.GNU-stack","",@progbits
	.addrsig
	.addrsig_sym __hip_cuid_7acaee3b04961c5e
	.amdgpu_metadata
---
amdhsa.kernels:
  - .args:
      - .actual_access:  read_only
        .address_space:  global
        .offset:         0
        .size:           8
        .value_kind:     global_buffer
      - .offset:         8
        .size:           8
        .value_kind:     by_value
      - .actual_access:  read_only
        .address_space:  global
        .offset:         16
        .size:           8
        .value_kind:     global_buffer
      - .actual_access:  read_only
        .address_space:  global
        .offset:         24
        .size:           8
        .value_kind:     global_buffer
      - .actual_access:  read_only
        .address_space:  global
        .offset:         32
        .size:           8
        .value_kind:     global_buffer
      - .offset:         40
        .size:           8
        .value_kind:     by_value
      - .actual_access:  read_only
        .address_space:  global
        .offset:         48
        .size:           8
        .value_kind:     global_buffer
      - .actual_access:  read_only
        .address_space:  global
        .offset:         56
        .size:           8
        .value_kind:     global_buffer
      - .offset:         64
        .size:           4
        .value_kind:     by_value
      - .actual_access:  read_only
        .address_space:  global
        .offset:         72
        .size:           8
        .value_kind:     global_buffer
      - .actual_access:  read_only
        .address_space:  global
        .offset:         80
        .size:           8
        .value_kind:     global_buffer
      - .actual_access:  read_only
        .address_space:  global
        .offset:         88
        .size:           8
        .value_kind:     global_buffer
      - .actual_access:  write_only
        .address_space:  global
        .offset:         96
        .size:           8
        .value_kind:     global_buffer
    .group_segment_fixed_size: 0
    .kernarg_segment_align: 8
    .kernarg_segment_size: 104
    .language:       OpenCL C
    .language_version:
      - 2
      - 0
    .max_flat_workgroup_size: 51
    .name:           fft_rtc_back_len714_factors_3_17_7_2_wgs_51_tpt_51_halfLds_sp_op_CI_CI_sbrr_dirReg
    .private_segment_fixed_size: 0
    .sgpr_count:     36
    .sgpr_spill_count: 0
    .symbol:         fft_rtc_back_len714_factors_3_17_7_2_wgs_51_tpt_51_halfLds_sp_op_CI_CI_sbrr_dirReg.kd
    .uniform_work_group_size: 1
    .uses_dynamic_stack: false
    .vgpr_count:     88
    .vgpr_spill_count: 0
    .wavefront_size: 64
amdhsa.target:   amdgcn-amd-amdhsa--gfx906
amdhsa.version:
  - 1
  - 2
...

	.end_amdgpu_metadata
